;; amdgpu-corpus repo=ROCm/rocFFT kind=compiled arch=gfx1201 opt=O3
	.text
	.amdgcn_target "amdgcn-amd-amdhsa--gfx1201"
	.amdhsa_code_object_version 6
	.protected	fft_rtc_fwd_len3750_factors_3_5_5_10_5_wgs_125_tpt_125_halfLds_sp_ip_CI_sbrr_dirReg ; -- Begin function fft_rtc_fwd_len3750_factors_3_5_5_10_5_wgs_125_tpt_125_halfLds_sp_ip_CI_sbrr_dirReg
	.globl	fft_rtc_fwd_len3750_factors_3_5_5_10_5_wgs_125_tpt_125_halfLds_sp_ip_CI_sbrr_dirReg
	.p2align	8
	.type	fft_rtc_fwd_len3750_factors_3_5_5_10_5_wgs_125_tpt_125_halfLds_sp_ip_CI_sbrr_dirReg,@function
fft_rtc_fwd_len3750_factors_3_5_5_10_5_wgs_125_tpt_125_halfLds_sp_ip_CI_sbrr_dirReg: ; @fft_rtc_fwd_len3750_factors_3_5_5_10_5_wgs_125_tpt_125_halfLds_sp_ip_CI_sbrr_dirReg
; %bb.0:
	s_clause 0x2
	s_load_b64 s[12:13], s[0:1], 0x18
	s_load_b128 s[4:7], s[0:1], 0x0
	s_load_b64 s[10:11], s[0:1], 0x50
	v_mul_u32_u24_e32 v1, 0x20d, v0
	v_mov_b32_e32 v3, 0
	s_delay_alu instid0(VALU_DEP_2) | instskip(NEXT) | instid1(VALU_DEP_1)
	v_lshrrev_b32_e32 v1, 16, v1
	v_add_nc_u32_e32 v5, ttmp9, v1
	v_mov_b32_e32 v1, 0
	v_mov_b32_e32 v2, 0
	;; [unrolled: 1-line block ×3, first 2 shown]
	s_wait_kmcnt 0x0
	s_load_b64 s[8:9], s[12:13], 0x0
	v_cmp_lt_u64_e64 s2, s[6:7], 2
	s_delay_alu instid0(VALU_DEP_1)
	s_and_b32 vcc_lo, exec_lo, s2
	s_cbranch_vccnz .LBB0_8
; %bb.1:
	s_load_b64 s[2:3], s[0:1], 0x10
	v_mov_b32_e32 v1, 0
	v_mov_b32_e32 v2, 0
	s_add_nc_u64 s[14:15], s[12:13], 8
	s_mov_b64 s[16:17], 1
	s_wait_kmcnt 0x0
	s_add_nc_u64 s[18:19], s[2:3], 8
	s_mov_b32 s3, 0
.LBB0_2:                                ; =>This Inner Loop Header: Depth=1
	s_load_b64 s[20:21], s[18:19], 0x0
                                        ; implicit-def: $vgpr7_vgpr8
	s_mov_b32 s2, exec_lo
	s_wait_kmcnt 0x0
	v_or_b32_e32 v4, s21, v6
	s_delay_alu instid0(VALU_DEP_1)
	v_cmpx_ne_u64_e32 0, v[3:4]
	s_wait_alu 0xfffe
	s_xor_b32 s22, exec_lo, s2
	s_cbranch_execz .LBB0_4
; %bb.3:                                ;   in Loop: Header=BB0_2 Depth=1
	s_cvt_f32_u32 s2, s20
	s_cvt_f32_u32 s23, s21
	s_sub_nc_u64 s[26:27], 0, s[20:21]
	s_wait_alu 0xfffe
	s_delay_alu instid0(SALU_CYCLE_1) | instskip(SKIP_1) | instid1(SALU_CYCLE_2)
	s_fmamk_f32 s2, s23, 0x4f800000, s2
	s_wait_alu 0xfffe
	v_s_rcp_f32 s2, s2
	s_delay_alu instid0(TRANS32_DEP_1) | instskip(SKIP_1) | instid1(SALU_CYCLE_2)
	s_mul_f32 s2, s2, 0x5f7ffffc
	s_wait_alu 0xfffe
	s_mul_f32 s23, s2, 0x2f800000
	s_wait_alu 0xfffe
	s_delay_alu instid0(SALU_CYCLE_2) | instskip(SKIP_1) | instid1(SALU_CYCLE_2)
	s_trunc_f32 s23, s23
	s_wait_alu 0xfffe
	s_fmamk_f32 s2, s23, 0xcf800000, s2
	s_cvt_u32_f32 s25, s23
	s_wait_alu 0xfffe
	s_delay_alu instid0(SALU_CYCLE_1) | instskip(SKIP_1) | instid1(SALU_CYCLE_2)
	s_cvt_u32_f32 s24, s2
	s_wait_alu 0xfffe
	s_mul_u64 s[28:29], s[26:27], s[24:25]
	s_wait_alu 0xfffe
	s_mul_hi_u32 s31, s24, s29
	s_mul_i32 s30, s24, s29
	s_mul_hi_u32 s2, s24, s28
	s_mul_i32 s33, s25, s28
	s_wait_alu 0xfffe
	s_add_nc_u64 s[30:31], s[2:3], s[30:31]
	s_mul_hi_u32 s23, s25, s28
	s_mul_hi_u32 s34, s25, s29
	s_add_co_u32 s2, s30, s33
	s_wait_alu 0xfffe
	s_add_co_ci_u32 s2, s31, s23
	s_mul_i32 s28, s25, s29
	s_add_co_ci_u32 s29, s34, 0
	s_wait_alu 0xfffe
	s_add_nc_u64 s[28:29], s[2:3], s[28:29]
	s_wait_alu 0xfffe
	v_add_co_u32 v4, s2, s24, s28
	s_delay_alu instid0(VALU_DEP_1) | instskip(SKIP_1) | instid1(VALU_DEP_1)
	s_cmp_lg_u32 s2, 0
	s_add_co_ci_u32 s25, s25, s29
	v_readfirstlane_b32 s24, v4
	s_wait_alu 0xfffe
	s_delay_alu instid0(VALU_DEP_1)
	s_mul_u64 s[26:27], s[26:27], s[24:25]
	s_wait_alu 0xfffe
	s_mul_hi_u32 s29, s24, s27
	s_mul_i32 s28, s24, s27
	s_mul_hi_u32 s2, s24, s26
	s_mul_i32 s30, s25, s26
	s_wait_alu 0xfffe
	s_add_nc_u64 s[28:29], s[2:3], s[28:29]
	s_mul_hi_u32 s23, s25, s26
	s_mul_hi_u32 s24, s25, s27
	s_wait_alu 0xfffe
	s_add_co_u32 s2, s28, s30
	s_add_co_ci_u32 s2, s29, s23
	s_mul_i32 s26, s25, s27
	s_add_co_ci_u32 s27, s24, 0
	s_wait_alu 0xfffe
	s_add_nc_u64 s[26:27], s[2:3], s[26:27]
	s_wait_alu 0xfffe
	v_add_co_u32 v4, s2, v4, s26
	s_delay_alu instid0(VALU_DEP_1) | instskip(SKIP_1) | instid1(VALU_DEP_1)
	s_cmp_lg_u32 s2, 0
	s_add_co_ci_u32 s2, s25, s27
	v_mul_hi_u32 v13, v5, v4
	s_wait_alu 0xfffe
	v_mad_co_u64_u32 v[7:8], null, v5, s2, 0
	v_mad_co_u64_u32 v[9:10], null, v6, v4, 0
	;; [unrolled: 1-line block ×3, first 2 shown]
	s_delay_alu instid0(VALU_DEP_3) | instskip(SKIP_1) | instid1(VALU_DEP_4)
	v_add_co_u32 v4, vcc_lo, v13, v7
	s_wait_alu 0xfffd
	v_add_co_ci_u32_e32 v7, vcc_lo, 0, v8, vcc_lo
	s_delay_alu instid0(VALU_DEP_2) | instskip(SKIP_1) | instid1(VALU_DEP_2)
	v_add_co_u32 v4, vcc_lo, v4, v9
	s_wait_alu 0xfffd
	v_add_co_ci_u32_e32 v4, vcc_lo, v7, v10, vcc_lo
	s_wait_alu 0xfffd
	v_add_co_ci_u32_e32 v7, vcc_lo, 0, v12, vcc_lo
	s_delay_alu instid0(VALU_DEP_2) | instskip(SKIP_1) | instid1(VALU_DEP_2)
	v_add_co_u32 v4, vcc_lo, v4, v11
	s_wait_alu 0xfffd
	v_add_co_ci_u32_e32 v9, vcc_lo, 0, v7, vcc_lo
	s_delay_alu instid0(VALU_DEP_2) | instskip(SKIP_1) | instid1(VALU_DEP_3)
	v_mul_lo_u32 v10, s21, v4
	v_mad_co_u64_u32 v[7:8], null, s20, v4, 0
	v_mul_lo_u32 v11, s20, v9
	s_delay_alu instid0(VALU_DEP_2) | instskip(NEXT) | instid1(VALU_DEP_2)
	v_sub_co_u32 v7, vcc_lo, v5, v7
	v_add3_u32 v8, v8, v11, v10
	s_delay_alu instid0(VALU_DEP_1) | instskip(SKIP_1) | instid1(VALU_DEP_1)
	v_sub_nc_u32_e32 v10, v6, v8
	s_wait_alu 0xfffd
	v_subrev_co_ci_u32_e64 v10, s2, s21, v10, vcc_lo
	v_add_co_u32 v11, s2, v4, 2
	s_wait_alu 0xf1ff
	v_add_co_ci_u32_e64 v12, s2, 0, v9, s2
	v_sub_co_u32 v13, s2, v7, s20
	v_sub_co_ci_u32_e32 v8, vcc_lo, v6, v8, vcc_lo
	s_wait_alu 0xf1ff
	v_subrev_co_ci_u32_e64 v10, s2, 0, v10, s2
	s_delay_alu instid0(VALU_DEP_3) | instskip(NEXT) | instid1(VALU_DEP_3)
	v_cmp_le_u32_e32 vcc_lo, s20, v13
	v_cmp_eq_u32_e64 s2, s21, v8
	s_wait_alu 0xfffd
	v_cndmask_b32_e64 v13, 0, -1, vcc_lo
	v_cmp_le_u32_e32 vcc_lo, s21, v10
	s_wait_alu 0xfffd
	v_cndmask_b32_e64 v14, 0, -1, vcc_lo
	v_cmp_le_u32_e32 vcc_lo, s20, v7
	;; [unrolled: 3-line block ×3, first 2 shown]
	s_wait_alu 0xfffd
	v_cndmask_b32_e64 v15, 0, -1, vcc_lo
	v_cmp_eq_u32_e32 vcc_lo, s21, v10
	s_wait_alu 0xf1ff
	s_delay_alu instid0(VALU_DEP_2)
	v_cndmask_b32_e64 v7, v15, v7, s2
	s_wait_alu 0xfffd
	v_cndmask_b32_e32 v10, v14, v13, vcc_lo
	v_add_co_u32 v13, vcc_lo, v4, 1
	s_wait_alu 0xfffd
	v_add_co_ci_u32_e32 v14, vcc_lo, 0, v9, vcc_lo
	s_delay_alu instid0(VALU_DEP_3) | instskip(SKIP_2) | instid1(VALU_DEP_3)
	v_cmp_ne_u32_e32 vcc_lo, 0, v10
	s_wait_alu 0xfffd
	v_cndmask_b32_e32 v10, v13, v11, vcc_lo
	v_cndmask_b32_e32 v8, v14, v12, vcc_lo
	v_cmp_ne_u32_e32 vcc_lo, 0, v7
	s_wait_alu 0xfffd
	s_delay_alu instid0(VALU_DEP_2)
	v_dual_cndmask_b32 v7, v4, v10 :: v_dual_cndmask_b32 v8, v9, v8
.LBB0_4:                                ;   in Loop: Header=BB0_2 Depth=1
	s_wait_alu 0xfffe
	s_and_not1_saveexec_b32 s2, s22
	s_cbranch_execz .LBB0_6
; %bb.5:                                ;   in Loop: Header=BB0_2 Depth=1
	v_cvt_f32_u32_e32 v4, s20
	s_sub_co_i32 s22, 0, s20
	s_delay_alu instid0(VALU_DEP_1) | instskip(NEXT) | instid1(TRANS32_DEP_1)
	v_rcp_iflag_f32_e32 v4, v4
	v_mul_f32_e32 v4, 0x4f7ffffe, v4
	s_delay_alu instid0(VALU_DEP_1) | instskip(SKIP_1) | instid1(VALU_DEP_1)
	v_cvt_u32_f32_e32 v4, v4
	s_wait_alu 0xfffe
	v_mul_lo_u32 v7, s22, v4
	s_delay_alu instid0(VALU_DEP_1) | instskip(NEXT) | instid1(VALU_DEP_1)
	v_mul_hi_u32 v7, v4, v7
	v_add_nc_u32_e32 v4, v4, v7
	s_delay_alu instid0(VALU_DEP_1) | instskip(NEXT) | instid1(VALU_DEP_1)
	v_mul_hi_u32 v4, v5, v4
	v_mul_lo_u32 v7, v4, s20
	v_add_nc_u32_e32 v8, 1, v4
	s_delay_alu instid0(VALU_DEP_2) | instskip(NEXT) | instid1(VALU_DEP_1)
	v_sub_nc_u32_e32 v7, v5, v7
	v_subrev_nc_u32_e32 v9, s20, v7
	v_cmp_le_u32_e32 vcc_lo, s20, v7
	s_wait_alu 0xfffd
	s_delay_alu instid0(VALU_DEP_2) | instskip(NEXT) | instid1(VALU_DEP_1)
	v_dual_cndmask_b32 v7, v7, v9 :: v_dual_cndmask_b32 v4, v4, v8
	v_cmp_le_u32_e32 vcc_lo, s20, v7
	s_delay_alu instid0(VALU_DEP_2) | instskip(SKIP_1) | instid1(VALU_DEP_1)
	v_add_nc_u32_e32 v8, 1, v4
	s_wait_alu 0xfffd
	v_dual_cndmask_b32 v7, v4, v8 :: v_dual_mov_b32 v8, v3
.LBB0_6:                                ;   in Loop: Header=BB0_2 Depth=1
	s_wait_alu 0xfffe
	s_or_b32 exec_lo, exec_lo, s2
	s_load_b64 s[22:23], s[14:15], 0x0
	s_delay_alu instid0(VALU_DEP_1)
	v_mul_lo_u32 v4, v8, s20
	v_mul_lo_u32 v11, v7, s21
	v_mad_co_u64_u32 v[9:10], null, v7, s20, 0
	s_add_nc_u64 s[16:17], s[16:17], 1
	s_add_nc_u64 s[14:15], s[14:15], 8
	s_wait_alu 0xfffe
	v_cmp_ge_u64_e64 s2, s[16:17], s[6:7]
	s_add_nc_u64 s[18:19], s[18:19], 8
	s_delay_alu instid0(VALU_DEP_2) | instskip(NEXT) | instid1(VALU_DEP_3)
	v_add3_u32 v4, v10, v11, v4
	v_sub_co_u32 v5, vcc_lo, v5, v9
	s_wait_alu 0xfffd
	s_delay_alu instid0(VALU_DEP_2) | instskip(SKIP_3) | instid1(VALU_DEP_2)
	v_sub_co_ci_u32_e32 v4, vcc_lo, v6, v4, vcc_lo
	s_and_b32 vcc_lo, exec_lo, s2
	s_wait_kmcnt 0x0
	v_mul_lo_u32 v6, s23, v5
	v_mul_lo_u32 v4, s22, v4
	v_mad_co_u64_u32 v[1:2], null, s22, v5, v[1:2]
	s_delay_alu instid0(VALU_DEP_1)
	v_add3_u32 v2, v6, v2, v4
	s_wait_alu 0xfffe
	s_cbranch_vccnz .LBB0_9
; %bb.7:                                ;   in Loop: Header=BB0_2 Depth=1
	v_dual_mov_b32 v5, v7 :: v_dual_mov_b32 v6, v8
	s_branch .LBB0_2
.LBB0_8:
	v_dual_mov_b32 v8, v6 :: v_dual_mov_b32 v7, v5
.LBB0_9:
	s_lshl_b64 s[2:3], s[6:7], 3
	v_mul_hi_u32 v3, 0x20c49bb, v0
	s_wait_alu 0xfffe
	s_add_nc_u64 s[2:3], s[12:13], s[2:3]
	s_load_b64 s[0:1], s[0:1], 0x20
	s_load_b64 s[2:3], s[2:3], 0x0
                                        ; implicit-def: $vgpr104
                                        ; implicit-def: $vgpr106
                                        ; implicit-def: $vgpr107
                                        ; implicit-def: $vgpr108
                                        ; implicit-def: $vgpr115
                                        ; implicit-def: $vgpr43
	s_delay_alu instid0(VALU_DEP_1) | instskip(NEXT) | instid1(VALU_DEP_1)
	v_mul_u32_u24_e32 v3, 0x7d, v3
	v_sub_nc_u32_e32 v101, v0, v3
	s_delay_alu instid0(VALU_DEP_1)
	v_add_nc_u32_e32 v97, 0x7d, v101
	v_add_nc_u32_e32 v92, 0xfa, v101
	;; [unrolled: 1-line block ×4, first 2 shown]
	s_wait_kmcnt 0x0
	v_cmp_gt_u64_e32 vcc_lo, s[0:1], v[7:8]
	v_mul_lo_u32 v3, s2, v8
	v_mul_lo_u32 v4, s3, v7
	v_mad_co_u64_u32 v[0:1], null, s2, v7, v[1:2]
	v_cmp_le_u64_e64 s0, s[0:1], v[7:8]
	v_add_nc_u32_e32 v82, 0x271, v101
	v_add_nc_u32_e32 v100, 0x2ee, v101
	;; [unrolled: 1-line block ×3, first 2 shown]
                                        ; implicit-def: $vgpr8
	v_add3_u32 v1, v4, v1, v3
	s_and_saveexec_b32 s1, s0
	s_wait_alu 0xfffe
	s_xor_b32 s0, exec_lo, s1
; %bb.10:
	v_add_nc_u32_e32 v104, 0x7d, v101
	v_add_nc_u32_e32 v106, 0xfa, v101
	;; [unrolled: 1-line block ×7, first 2 shown]
; %bb.11:
	s_wait_alu 0xfffe
	s_or_saveexec_b32 s1, s0
	v_lshlrev_b64_e32 v[44:45], 3, v[0:1]
	v_add_nc_u32_e32 v89, 0x9c4, v101
	v_add_nc_u32_e32 v84, 0xa41, v101
	;; [unrolled: 1-line block ×14, first 2 shown]
                                        ; implicit-def: $vgpr47
                                        ; implicit-def: $vgpr42
                                        ; implicit-def: $vgpr14
                                        ; implicit-def: $vgpr51
                                        ; implicit-def: $vgpr49
                                        ; implicit-def: $vgpr20
                                        ; implicit-def: $vgpr55
                                        ; implicit-def: $vgpr53
                                        ; implicit-def: $vgpr18
                                        ; implicit-def: $vgpr59
                                        ; implicit-def: $vgpr57
                                        ; implicit-def: $vgpr16
                                        ; implicit-def: $vgpr63
                                        ; implicit-def: $vgpr61
                                        ; implicit-def: $vgpr5
                                        ; implicit-def: $vgpr40
                                        ; implicit-def: $vgpr38
                                        ; implicit-def: $vgpr10
                                        ; implicit-def: $vgpr34
                                        ; implicit-def: $vgpr32
                                        ; implicit-def: $vgpr12
                                        ; implicit-def: $vgpr36
                                        ; implicit-def: $vgpr26
                                        ; implicit-def: $vgpr7
                                        ; implicit-def: $vgpr30
                                        ; implicit-def: $vgpr28
                                        ; implicit-def: $vgpr1
                                        ; implicit-def: $vgpr22
                                        ; implicit-def: $vgpr24
                                        ; implicit-def: $vgpr3
	s_wait_alu 0xfffe
	s_xor_b32 exec_lo, exec_lo, s1
	s_cbranch_execz .LBB0_13
; %bb.12:
	v_add_nc_u32_e32 v7, 0x4e2, v101
	v_mad_co_u64_u32 v[0:1], null, s8, v101, 0
	v_mad_co_u64_u32 v[9:10], null, s8, v97, 0
	s_delay_alu instid0(VALU_DEP_3) | instskip(SKIP_3) | instid1(VALU_DEP_4)
	v_mad_co_u64_u32 v[2:3], null, s8, v7, 0
	v_mad_co_u64_u32 v[25:26], null, s8, v103, 0
	;; [unrolled: 1-line block ×6, first 2 shown]
	v_dual_mov_b32 v1, v3 :: v_dual_add_nc_u32 v18, 0x55f, v101
	v_mad_co_u64_u32 v[39:40], null, s8, v82, 0
	v_mad_co_u64_u32 v[72:73], null, s8, v96, 0
	s_delay_alu instid0(VALU_DEP_3) | instskip(SKIP_3) | instid1(VALU_DEP_3)
	v_mad_co_u64_u32 v[7:8], null, s9, v7, v[1:2]
	v_dual_mov_b32 v1, v4 :: v_dual_mov_b32 v4, v6
	v_mov_b32_e32 v6, v10
	v_add_co_u32 v8, s0, s10, v44
	v_lshlrev_b64_e32 v[0:1], 3, v[0:1]
	s_delay_alu instid0(VALU_DEP_4)
	v_mad_co_u64_u32 v[10:11], null, s9, v89, v[4:5]
	v_mov_b32_e32 v3, v7
	s_wait_alu 0xf1ff
	v_add_co_ci_u32_e64 v13, s0, s11, v45, s0
	v_mad_co_u64_u32 v[11:12], null, s9, v97, v[6:7]
	v_add_co_u32 v0, s0, v8, v0
	v_mov_b32_e32 v6, v10
	v_lshlrev_b64_e32 v[2:3], 3, v[2:3]
	v_mad_co_u64_u32 v[14:15], null, s8, v18, 0
	s_wait_alu 0xf1ff
	v_add_co_ci_u32_e64 v1, s0, v13, v1, s0
	v_mov_b32_e32 v10, v11
	s_delay_alu instid0(VALU_DEP_4)
	v_add_co_u32 v16, s0, v8, v2
	s_wait_alu 0xf1ff
	v_add_co_ci_u32_e64 v17, s0, v13, v3, s0
	v_lshlrev_b64_e32 v[2:3], 3, v[5:6]
	v_mad_co_u64_u32 v[5:6], null, s8, v84, 0
	v_mov_b32_e32 v4, v15
	v_mad_co_u64_u32 v[48:49], null, s8, v100, 0
	v_mad_co_u64_u32 v[50:51], null, s8, v98, 0
	;; [unrolled: 1-line block ×3, first 2 shown]
	s_delay_alu instid0(VALU_DEP_4)
	v_mad_co_u64_u32 v[11:12], null, s9, v18, v[4:5]
	v_add_co_u32 v18, s0, v8, v2
	s_wait_alu 0xf1ff
	v_add_co_ci_u32_e64 v19, s0, v13, v3, s0
	v_mov_b32_e32 v2, v6
	v_mad_co_u64_u32 v[57:58], null, s8, v93, 0
	v_mov_b32_e32 v15, v11
	v_lshlrev_b64_e32 v[9:10], 3, v[9:10]
	v_mad_co_u64_u32 v[59:60], null, s8, v102, 0
	v_mad_co_u64_u32 v[68:69], null, s8, v87, 0
	v_add_nc_u32_e32 v35, 0xb3b, v101
	s_delay_alu instid0(VALU_DEP_4)
	v_add_co_u32 v6, s0, v8, v9
	s_wait_alu 0xf1ff
	v_add_co_ci_u32_e64 v7, s0, v13, v10, s0
	v_mad_co_u64_u32 v[9:10], null, s9, v84, v[2:3]
	s_clause 0x3
	global_load_b64 v[2:3], v[0:1], off
	global_load_b64 v[23:24], v[16:17], off
	;; [unrolled: 1-line block ×4, first 2 shown]
	v_add_nc_u32_e32 v19, 0xabe, v101
	v_mov_b32_e32 v7, v26
	v_mad_co_u64_u32 v[10:11], null, s8, v92, 0
	v_lshlrev_b64_e32 v[14:15], 3, v[14:15]
	v_mov_b32_e32 v6, v9
	s_delay_alu instid0(VALU_DEP_4)
	v_mad_co_u64_u32 v[16:17], null, s9, v103, v[7:8]
	v_mad_co_u64_u32 v[17:18], null, s8, v19, 0
	v_mov_b32_e32 v4, v11
	v_mad_co_u64_u32 v[31:32], null, s8, v35, 0
	v_mov_b32_e32 v108, v83
	v_mov_b32_e32 v26, v16
	v_dual_mov_b32 v106, v92 :: v_dual_mov_b32 v9, v18
	v_mad_co_u64_u32 v[11:12], null, s9, v92, v[4:5]
	v_lshlrev_b64_e32 v[4:5], 3, v[5:6]
	v_add_co_u32 v6, s0, v8, v14
	s_wait_alu 0xf1ff
	v_add_co_ci_u32_e64 v7, s0, v13, v15, s0
	v_lshlrev_b64_e32 v[14:15], 3, v[25:26]
	v_lshlrev_b64_e32 v[10:11], 3, v[10:11]
	v_add_co_u32 v4, s0, v8, v4
	s_wait_alu 0xf1ff
	v_add_co_ci_u32_e64 v5, s0, v13, v5, s0
	v_mov_b32_e32 v104, v97
	s_delay_alu instid0(VALU_DEP_4)
	v_mad_co_u64_u32 v[18:19], null, s9, v19, v[9:10]
	v_add_co_u32 v9, s0, v8, v10
	s_wait_alu 0xf1ff
	v_add_co_ci_u32_e64 v10, s0, v13, v11, s0
	v_add_co_u32 v11, s0, v8, v14
	s_wait_alu 0xf1ff
	v_add_co_ci_u32_e64 v12, s0, v13, v15, s0
	s_clause 0x3
	global_load_b64 v[27:28], v[6:7], off
	global_load_b64 v[29:30], v[4:5], off
	global_load_b64 v[6:7], v[9:10], off
	global_load_b64 v[25:26], v[11:12], off
	v_mov_b32_e32 v5, v32
	v_mad_co_u64_u32 v[19:20], null, s8, v86, 0
	v_mad_co_u64_u32 v[15:16], null, s8, v95, 0
	v_lshlrev_b64_e32 v[9:10], 3, v[17:18]
	v_mad_co_u64_u32 v[17:18], null, s8, v83, 0
	s_delay_alu instid0(VALU_DEP_4) | instskip(NEXT) | instid1(VALU_DEP_4)
	v_dual_mov_b32 v107, v86 :: v_dual_mov_b32 v14, v20
	v_dual_mov_b32 v115, v82 :: v_dual_mov_b32 v4, v16
	s_delay_alu instid0(VALU_DEP_4) | instskip(NEXT) | instid1(VALU_DEP_3)
	v_add_co_u32 v9, s0, v8, v9
	v_mad_co_u64_u32 v[33:34], null, s9, v86, v[14:15]
	s_delay_alu instid0(VALU_DEP_3) | instskip(SKIP_2) | instid1(VALU_DEP_3)
	v_mad_co_u64_u32 v[11:12], null, s9, v95, v[4:5]
	s_wait_alu 0xf1ff
	v_add_co_ci_u32_e64 v10, s0, v13, v10, s0
	v_mov_b32_e32 v20, v33
	s_delay_alu instid0(VALU_DEP_3) | instskip(NEXT) | instid1(VALU_DEP_2)
	v_mov_b32_e32 v16, v11
	v_lshlrev_b64_e32 v[19:20], 3, v[19:20]
	s_delay_alu instid0(VALU_DEP_2) | instskip(NEXT) | instid1(VALU_DEP_2)
	v_lshlrev_b64_e32 v[14:15], 3, v[15:16]
	v_add_co_u32 v11, s0, v8, v19
	s_wait_alu 0xf1ff
	s_delay_alu instid0(VALU_DEP_3) | instskip(NEXT) | instid1(VALU_DEP_3)
	v_add_co_ci_u32_e64 v12, s0, v13, v20, s0
	v_add_co_u32 v14, s0, v8, v14
	s_wait_alu 0xf1ff
	v_add_co_ci_u32_e64 v15, s0, v13, v15, s0
	s_wait_loadcnt 0x1
	v_mad_co_u64_u32 v[4:5], null, s9, v35, v[5:6]
	s_delay_alu instid0(VALU_DEP_1) | instskip(SKIP_1) | instid1(VALU_DEP_2)
	v_mov_b32_e32 v32, v4
	v_mov_b32_e32 v4, v18
	v_lshlrev_b64_e32 v[18:19], 3, v[31:32]
	s_delay_alu instid0(VALU_DEP_2) | instskip(NEXT) | instid1(VALU_DEP_2)
	v_mad_co_u64_u32 v[4:5], null, s9, v83, v[4:5]
	v_add_co_u32 v33, s0, v8, v18
	s_wait_alu 0xf1ff
	s_delay_alu instid0(VALU_DEP_3) | instskip(NEXT) | instid1(VALU_DEP_3)
	v_add_co_ci_u32_e64 v34, s0, v13, v19, s0
	v_mov_b32_e32 v18, v4
	v_mov_b32_e32 v4, v38
	v_mad_co_u64_u32 v[19:20], null, s8, v99, 0
	s_clause 0x3
	global_load_b64 v[35:36], v[9:10], off
	global_load_b64 v[11:12], v[11:12], off
	global_load_b64 v[31:32], v[14:15], off
	global_load_b64 v[33:34], v[33:34], off
	v_mov_b32_e32 v14, v40
	v_mad_co_u64_u32 v[4:5], null, s9, v91, v[4:5]
	v_lshlrev_b64_e32 v[9:10], 3, v[17:18]
	v_mov_b32_e32 v5, v20
	s_delay_alu instid0(VALU_DEP_4) | instskip(SKIP_2) | instid1(VALU_DEP_4)
	v_mad_co_u64_u32 v[14:15], null, s9, v82, v[14:15]
	v_mad_co_u64_u32 v[15:16], null, s8, v88, 0
	v_mov_b32_e32 v38, v4
	v_mad_co_u64_u32 v[4:5], null, s9, v99, v[5:6]
	v_add_co_u32 v9, s0, v8, v9
	s_delay_alu instid0(VALU_DEP_3)
	v_lshlrev_b64_e32 v[17:18], 3, v[37:38]
	v_mov_b32_e32 v40, v14
	s_wait_alu 0xf1ff
	v_add_co_ci_u32_e64 v10, s0, v13, v10, s0
	v_mov_b32_e32 v20, v4
	v_mov_b32_e32 v4, v16
	v_add_co_u32 v17, s0, v8, v17
	v_lshlrev_b64_e32 v[37:38], 3, v[39:40]
	s_delay_alu instid0(VALU_DEP_4) | instskip(NEXT) | instid1(VALU_DEP_4)
	v_lshlrev_b64_e32 v[19:20], 3, v[19:20]
	v_mad_co_u64_u32 v[4:5], null, s9, v88, v[4:5]
	v_mov_b32_e32 v5, v42
	s_wait_alu 0xf1ff
	v_add_co_ci_u32_e64 v18, s0, v13, v18, s0
	s_delay_alu instid0(VALU_DEP_4) | instskip(NEXT) | instid1(VALU_DEP_3)
	v_add_co_u32 v19, s0, v8, v19
	v_mad_co_u64_u32 v[42:43], null, s9, v94, v[5:6]
	v_mov_b32_e32 v16, v4
	s_wait_alu 0xf1ff
	v_add_co_ci_u32_e64 v20, s0, v13, v20, s0
	v_add_nc_u32_e32 v43, 0x7d0, v101
	v_add_co_u32 v46, s0, v8, v37
	s_wait_alu 0xf1ff
	v_add_co_ci_u32_e64 v47, s0, v13, v38, s0
	v_lshlrev_b64_e32 v[15:16], 3, v[15:16]
	s_clause 0x3
	global_load_b64 v[9:10], v[9:10], off
	global_load_b64 v[37:38], v[17:18], off
	;; [unrolled: 1-line block ×4, first 2 shown]
	v_mov_b32_e32 v14, v49
	v_mad_co_u64_u32 v[17:18], null, s8, v43, 0
	v_lshlrev_b64_e32 v[41:42], 3, v[41:42]
	s_delay_alu instid0(VALU_DEP_3)
	v_mad_co_u64_u32 v[19:20], null, s9, v100, v[14:15]
	v_add_co_u32 v14, s0, v8, v15
	s_wait_alu 0xf1ff
	v_add_co_ci_u32_e64 v15, s0, v13, v16, s0
	v_mov_b32_e32 v16, v18
	v_add_co_u32 v41, s0, v8, v41
	v_mov_b32_e32 v49, v19
	v_mad_co_u64_u32 v[19:20], null, s8, v90, 0
	s_delay_alu instid0(VALU_DEP_4) | instskip(SKIP_1) | instid1(VALU_DEP_4)
	v_mad_co_u64_u32 v[46:47], null, s9, v43, v[16:17]
	v_add_nc_u32_e32 v43, 0x84d, v101
	v_lshlrev_b64_e32 v[47:48], 3, v[48:49]
	s_wait_alu 0xf1ff
	v_add_co_ci_u32_e64 v42, s0, v13, v42, s0
	v_mov_b32_e32 v16, v20
	v_mov_b32_e32 v18, v46
	s_delay_alu instid0(VALU_DEP_4) | instskip(NEXT) | instid1(VALU_DEP_3)
	v_add_co_u32 v46, s0, v8, v47
	v_mad_co_u64_u32 v[52:53], null, s9, v90, v[16:17]
	s_delay_alu instid0(VALU_DEP_3) | instskip(SKIP_4) | instid1(VALU_DEP_3)
	v_lshlrev_b64_e32 v[17:18], 3, v[17:18]
	v_mov_b32_e32 v16, v51
	v_mad_co_u64_u32 v[53:54], null, s8, v43, 0
	s_wait_alu 0xf1ff
	v_add_co_ci_u32_e64 v47, s0, v13, v48, s0
	v_mad_co_u64_u32 v[48:49], null, s9, v98, v[16:17]
	v_add_co_u32 v17, s0, v8, v17
	s_delay_alu instid0(VALU_DEP_4)
	v_mov_b32_e32 v16, v54
	v_mov_b32_e32 v20, v52
	s_wait_alu 0xf1ff
	v_add_co_ci_u32_e64 v18, s0, v13, v18, s0
	v_mov_b32_e32 v51, v48
	v_mad_co_u64_u32 v[48:49], null, s9, v43, v[16:17]
	v_mov_b32_e32 v16, v56
	v_lshlrev_b64_e32 v[19:20], 3, v[19:20]
	s_delay_alu instid0(VALU_DEP_4) | instskip(SKIP_1) | instid1(VALU_DEP_4)
	v_lshlrev_b64_e32 v[49:50], 3, v[50:51]
	v_add_nc_u32_e32 v43, 0xdac, v101
	v_mad_co_u64_u32 v[51:52], null, s9, v85, v[16:17]
	v_mov_b32_e32 v54, v48
	v_add_co_u32 v19, s0, v8, v19
	v_mov_b32_e32 v16, v58
	s_wait_alu 0xf1ff
	v_add_co_ci_u32_e64 v20, s0, v13, v20, s0
	v_lshlrev_b64_e32 v[52:53], 3, v[53:54]
	v_add_co_u32 v48, s0, v8, v49
	s_wait_alu 0xf1ff
	v_add_co_ci_u32_e64 v49, s0, v13, v50, s0
	v_mov_b32_e32 v56, v51
	v_mad_co_u64_u32 v[50:51], null, s9, v93, v[16:17]
	v_mov_b32_e32 v16, v60
	v_add_co_u32 v51, s0, v8, v52
	s_wait_alu 0xf1ff
	v_add_co_ci_u32_e64 v52, s0, v13, v53, s0
	v_lshlrev_b64_e32 v[53:54], 3, v[55:56]
	v_mad_co_u64_u32 v[55:56], null, s9, v102, v[16:17]
	v_mov_b32_e32 v58, v50
	v_mad_co_u64_u32 v[64:65], null, s8, v43, 0
	s_delay_alu instid0(VALU_DEP_4)
	v_add_co_u32 v66, s0, v8, v53
	s_wait_alu 0xf1ff
	v_add_co_ci_u32_e64 v67, s0, v13, v54, s0
	v_lshlrev_b64_e32 v[53:54], 3, v[57:58]
	v_mov_b32_e32 v60, v55
	v_mov_b32_e32 v16, v65
	v_add_nc_u32_e32 v50, 0xe29, v101
	s_delay_alu instid0(VALU_DEP_4)
	v_add_co_u32 v70, s0, v8, v53
	s_wait_alu 0xf1ff
	v_add_co_ci_u32_e64 v71, s0, v13, v54, s0
	v_lshlrev_b64_e32 v[53:54], 3, v[59:60]
	v_mad_co_u64_u32 v[55:56], null, s9, v43, v[16:17]
	v_mov_b32_e32 v16, v69
	v_mad_co_u64_u32 v[76:77], null, s8, v50, 0
	s_delay_alu instid0(VALU_DEP_4)
	v_add_co_u32 v74, s0, v8, v53
	s_wait_alu 0xf1ff
	v_add_co_ci_u32_e64 v75, s0, v13, v54, s0
	v_mad_co_u64_u32 v[53:54], null, s9, v87, v[16:17]
	s_clause 0x3
	global_load_b64 v[60:61], v[14:15], off
	global_load_b64 v[62:63], v[41:42], off
	;; [unrolled: 1-line block ×4, first 2 shown]
	v_dual_mov_b32 v43, v73 :: v_dual_mov_b32 v14, v77
	v_mov_b32_e32 v65, v55
	s_delay_alu instid0(VALU_DEP_2)
	v_mad_co_u64_u32 v[41:42], null, s9, v96, v[43:44]
	v_mov_b32_e32 v69, v53
	s_clause 0x3
	global_load_b64 v[58:59], v[19:20], off
	global_load_b64 v[17:18], v[48:49], off
	;; [unrolled: 1-line block ×4, first 2 shown]
	v_lshlrev_b64_e32 v[19:20], 3, v[64:65]
	v_lshlrev_b64_e32 v[46:47], 3, v[68:69]
	v_mov_b32_e32 v73, v41
	s_wait_loadcnt 0x5
	v_mad_co_u64_u32 v[42:43], null, s9, v50, v[14:15]
	s_delay_alu instid0(VALU_DEP_4)
	v_add_co_u32 v50, s0, v8, v19
	s_wait_alu 0xf1ff
	v_add_co_ci_u32_e64 v51, s0, v13, v20, s0
	v_lshlrev_b64_e32 v[19:20], 3, v[72:73]
	v_add_co_u32 v41, s0, v8, v46
	v_mov_b32_e32 v77, v42
	s_wait_alu 0xf1ff
	v_add_co_ci_u32_e64 v42, s0, v13, v47, s0
	s_delay_alu instid0(VALU_DEP_4) | instskip(NEXT) | instid1(VALU_DEP_3)
	v_add_co_u32 v64, s0, v8, v19
	v_lshlrev_b64_e32 v[46:47], 3, v[76:77]
	s_wait_alu 0xf1ff
	v_add_co_ci_u32_e64 v65, s0, v13, v20, s0
	v_mov_b32_e32 v43, v87
	s_delay_alu instid0(VALU_DEP_3)
	v_add_co_u32 v46, s0, v8, v46
	s_wait_alu 0xf1ff
	v_add_co_ci_u32_e64 v47, s0, v13, v47, s0
	s_clause 0x5
	global_load_b64 v[19:20], v[70:71], off
	global_load_b64 v[48:49], v[74:75], off
	;; [unrolled: 1-line block ×6, first 2 shown]
	v_mov_b32_e32 v8, v100
.LBB0_13:
	s_or_b32 exec_lo, exec_lo, s1
	v_dual_add_f32 v64, v21, v23 :: v_dual_add_f32 v65, v23, v2
	v_dual_sub_f32 v66, v24, v22 :: v_dual_add_f32 v67, v22, v24
	v_add_f32_e32 v68, v35, v25
	s_delay_alu instid0(VALU_DEP_3) | instskip(SKIP_3) | instid1(VALU_DEP_4)
	v_dual_fmac_f32 v2, -0.5, v64 :: v_dual_add_f32 v65, v21, v65
	v_add_f32_e32 v24, v24, v3
	v_dual_add_f32 v64, v29, v27 :: v_dual_sub_f32 v21, v23, v21
	v_fmac_f32_e32 v3, -0.5, v67
	v_fmamk_f32 v67, v66, 0x3f5db3d7, v2
	v_fmac_f32_e32 v2, 0xbf5db3d7, v66
	v_dual_add_f32 v66, v22, v24 :: v_dual_sub_f32 v23, v28, v30
	v_add_f32_e32 v22, v27, v0
	v_fmac_f32_e32 v0, -0.5, v64
	v_fmamk_f32 v64, v21, 0xbf5db3d7, v3
	v_fmac_f32_e32 v3, 0x3f5db3d7, v21
	s_delay_alu instid0(VALU_DEP_4) | instskip(NEXT) | instid1(VALU_DEP_4)
	v_dual_add_f32 v21, v28, v1 :: v_dual_add_f32 v22, v29, v22
	v_fmamk_f32 v24, v23, 0x3f5db3d7, v0
	v_dual_add_f32 v72, v36, v26 :: v_dual_add_f32 v75, v34, v32
	v_sub_f32_e32 v76, v31, v33
	s_delay_alu instid0(VALU_DEP_4) | instskip(SKIP_4) | instid1(VALU_DEP_4)
	v_add_f32_e32 v69, v30, v21
	v_dual_add_f32 v21, v25, v6 :: v_dual_fmac_f32 v0, 0xbf5db3d7, v23
	v_fmac_f32_e32 v6, -0.5, v68
	v_dual_sub_f32 v23, v26, v36 :: v_dual_sub_f32 v68, v27, v29
	v_add_f32_e32 v27, v26, v7
	v_add_f32_e32 v21, v35, v21
	v_lshl_add_u32 v114, v101, 2, 0
	v_mad_i32_i24 v109, v104, 12, 0
	v_add_f32_e32 v78, v40, v38
	v_dual_add_f32 v71, v36, v27 :: v_dual_add_f32 v70, v30, v28
	v_dual_fmamk_f32 v29, v23, 0x3f5db3d7, v6 :: v_dual_add_f32 v28, v33, v31
	v_dual_sub_f32 v27, v32, v34 :: v_dual_fmac_f32 v6, 0xbf5db3d7, v23
	v_add_f32_e32 v23, v31, v11
	v_mad_i32_i24 v110, v106, 12, 0
	s_delay_alu instid0(VALU_DEP_4) | instskip(SKIP_3) | instid1(VALU_DEP_4)
	v_fmac_f32_e32 v11, -0.5, v28
	v_sub_f32_e32 v73, v25, v35
	v_add_f32_e32 v25, v32, v12
	v_dual_add_f32 v23, v33, v23 :: v_dual_add_f32 v28, v39, v37
	v_fmamk_f32 v26, v27, 0x3f5db3d7, v11
	s_delay_alu instid0(VALU_DEP_3)
	v_dual_fmac_f32 v11, 0xbf5db3d7, v27 :: v_dual_add_f32 v74, v34, v25
	v_add_f32_e32 v25, v37, v9
	v_sub_f32_e32 v27, v38, v40
	v_add_f32_e32 v30, v62, v60
	v_dual_fmac_f32 v9, -0.5, v28 :: v_dual_add_f32 v28, v38, v10
	s_wait_loadcnt 0x9
	v_add_f32_e32 v33, v58, v56
	v_add_f32_e32 v25, v39, v25
	s_wait_loadcnt 0x0
	v_dual_add_f32 v38, v46, v41 :: v_dual_add_nc_u32 v119, 0x2c00, v114
	v_dual_fmac_f32 v12, -0.5, v75 :: v_dual_add_f32 v77, v40, v28
	v_dual_sub_f32 v28, v61, v63 :: v_dual_fmamk_f32 v31, v27, 0x3f5db3d7, v9
	v_fmac_f32_e32 v9, 0xbf5db3d7, v27
	v_dual_add_f32 v27, v60, v4 :: v_dual_fmac_f32 v4, -0.5, v30
	v_add_f32_e32 v30, v61, v5
	v_sub_f32_e32 v79, v37, v39
	v_dual_add_f32 v61, v63, v61 :: v_dual_sub_f32 v60, v60, v62
	s_delay_alu instid0(VALU_DEP_4)
	v_fmamk_f32 v32, v28, 0x3f5db3d7, v4
	v_fmac_f32_e32 v4, 0xbf5db3d7, v28
	v_add_f32_e32 v80, v63, v30
	v_add_f32_e32 v28, v56, v15
	v_sub_f32_e32 v30, v57, v59
	v_add_f32_e32 v27, v62, v27
	v_fmac_f32_e32 v15, -0.5, v33
	v_add_f32_e32 v33, v57, v16
	v_add_f32_e32 v28, v58, v28
	v_add_f32_e32 v34, v54, v52
	s_delay_alu instid0(VALU_DEP_4) | instskip(SKIP_2) | instid1(VALU_DEP_4)
	v_dual_sub_f32 v56, v56, v58 :: v_dual_fmamk_f32 v35, v30, 0x3f5db3d7, v15
	v_dual_fmac_f32 v15, 0xbf5db3d7, v30 :: v_dual_add_f32 v30, v52, v17
	v_add_f32_e32 v63, v59, v33
	v_fmac_f32_e32 v17, -0.5, v34
	v_sub_f32_e32 v33, v53, v55
	v_add_f32_e32 v34, v53, v18
	v_add_f32_e32 v30, v54, v30
	v_dual_add_f32 v37, v50, v48 :: v_dual_sub_f32 v52, v52, v54
	v_lshlrev_b32_e32 v125, 3, v106
	s_delay_alu instid0(VALU_DEP_4)
	v_add_f32_e32 v58, v55, v34
	v_dual_sub_f32 v34, v49, v51 :: v_dual_add_f32 v57, v59, v57
	v_fmamk_f32 v36, v33, 0x3f5db3d7, v17
	v_fmac_f32_e32 v17, 0xbf5db3d7, v33
	v_add_f32_e32 v33, v48, v19
	v_fmac_f32_e32 v19, -0.5, v37
	v_mad_u32_u24 v59, v101, 12, 0
	v_dual_fmac_f32 v1, -0.5, v70 :: v_dual_lshlrev_b32 v126, 3, v107
	v_mad_i32_i24 v111, v107, 12, 0
	s_delay_alu instid0(VALU_DEP_4)
	v_fmamk_f32 v39, v34, 0x3f5db3d7, v19
	v_dual_fmac_f32 v19, 0xbf5db3d7, v34 :: v_dual_add_f32 v34, v41, v13
	v_add_f32_e32 v37, v49, v20
	v_fmac_f32_e32 v13, -0.5, v38
	v_add_f32_e32 v38, v42, v14
	v_mad_i32_i24 v112, v108, 12, 0
	v_add_f32_e32 v34, v46, v34
	v_dual_add_f32 v54, v51, v37 :: v_dual_sub_f32 v37, v42, v47
	v_dual_add_f32 v42, v47, v42 :: v_dual_lshlrev_b32 v129, 3, v108
	v_fmac_f32_e32 v10, -0.5, v78
	v_mad_i32_i24 v113, v115, 12, 0
	v_dual_fmac_f32 v16, -0.5, v57 :: v_dual_add_nc_u32 v117, 0xc00, v114
	v_lshlrev_b32_e32 v131, 3, v115
	v_lshlrev_b32_e32 v121, 3, v104
	v_dual_add_f32 v53, v55, v53 :: v_dual_sub_f32 v48, v48, v50
	v_dual_add_f32 v49, v51, v49 :: v_dual_sub_f32 v46, v41, v46
	ds_store_2addr_b32 v59, v65, v67 offset1:1
	ds_store_b32 v59, v2 offset:8
	ds_store_2addr_b32 v109, v22, v24 offset1:1
	ds_store_b32 v109, v0 offset:8
	;; [unrolled: 2-line block ×3, first 2 shown]
	v_mad_i32_i24 v105, v8, 12, 0
	v_dual_add_f32 v33, v50, v33 :: v_dual_add_nc_u32 v0, 0x2904, v59
	v_fmamk_f32 v40, v37, 0x3f5db3d7, v13
	v_dual_fmac_f32 v13, 0xbf5db3d7, v37 :: v_dual_lshlrev_b32 v116, 3, v8
	v_dual_fmac_f32 v7, -0.5, v72 :: v_dual_add_nc_u32 v118, 0x1400, v114
	v_sub_nc_u32_e32 v135, v110, v125
	v_fmamk_f32 v6, v68, 0xbf5db3d7, v1
	v_and_b32_e32 v41, 0xff, v104
	v_dual_add_f32 v81, v47, v38 :: v_dual_add_nc_u32 v2, 0x2ee0, v59
	v_sub_nc_u32_e32 v136, v111, v126
	v_fmac_f32_e32 v1, 0x3f5db3d7, v68
	v_sub_nc_u32_e32 v137, v112, v129
	v_sub_nc_u32_e32 v138, v113, v131
	ds_store_2addr_b32 v111, v23, v26 offset1:1
	ds_store_b32 v111, v11 offset:8
	ds_store_2addr_b32 v112, v25, v31 offset1:1
	ds_store_b32 v112, v9 offset:8
	ds_store_2addr_b32 v113, v27, v32 offset1:1
	ds_store_b32 v113, v4 offset:8
	v_mad_i32_i24 v4, v43, 12, 0
	v_sub_nc_u32_e32 v134, v109, v121
	ds_store_2addr_b32 v105, v28, v35 offset1:1
	ds_store_b32 v105, v15 offset:8
	ds_store_b32 v59, v17 offset:10508
	ds_store_2addr_b32 v2, v33, v39 offset1:1
	ds_store_2addr_b32 v0, v30, v36 offset1:1
	ds_store_b32 v59, v19 offset:12008
	ds_store_2addr_b32 v4, v34, v40 offset1:1
	ds_store_b32 v4, v13 offset:8
	global_wb scope:SCOPE_SE
	s_wait_dscnt 0x0
	s_barrier_signal -1
	s_barrier_wait -1
	global_inv scope:SCOPE_SE
	ds_load_b32 v50, v114
	v_sub_nc_u32_e32 v133, v105, v116
	v_dual_fmac_f32 v5, -0.5, v61 :: v_dual_add_nc_u32 v120, 0x2000, v114
	v_add_nc_u32_e32 v124, 0x1800, v114
	v_add_nc_u32_e32 v122, 0x2400, v114
	v_dual_fmac_f32 v18, -0.5, v53 :: v_dual_add_nc_u32 v123, 0x3000, v114
	v_dual_fmac_f32 v20, -0.5, v49 :: v_dual_add_nc_u32 v127, 0x1000, v114
	v_add_nc_u32_e32 v130, 0x1c00, v114
	v_add_nc_u32_e32 v128, 0x2800, v114
	;; [unrolled: 1-line block ×3, first 2 shown]
	ds_load_b32 v19, v135
	ds_load_b32 v17, v136
	;; [unrolled: 1-line block ×6, first 2 shown]
	ds_load_b32 v62, v114 offset:14500
	ds_load_2addr_b32 v[23:24], v118 offset0:95 offset1:220
	ds_load_2addr_b32 v[21:22], v120 offset0:77 offset1:202
	;; [unrolled: 1-line block ×11, first 2 shown]
	global_wb scope:SCOPE_SE
	s_wait_dscnt 0x0
	s_barrier_signal -1
	s_barrier_wait -1
	global_inv scope:SCOPE_SE
	ds_store_2addr_b32 v59, v66, v64 offset1:1
	ds_store_b32 v59, v3 offset:8
	v_dual_fmamk_f32 v3, v73, 0xbf5db3d7, v7 :: v_dual_fmac_f32 v14, -0.5, v42
	ds_store_2addr_b32 v109, v69, v6 offset1:1
	ds_store_b32 v109, v1 offset:8
	v_fmamk_f32 v1, v76, 0xbf5db3d7, v12
	v_mul_lo_u16 v6, 0xab, v41
	v_dual_fmac_f32 v7, 0x3f5db3d7, v73 :: v_dual_fmac_f32 v12, 0x3f5db3d7, v76
	ds_store_2addr_b32 v110, v71, v3 offset1:1
	ds_store_b32 v110, v7 offset:8
	v_fmamk_f32 v3, v79, 0xbf5db3d7, v10
	ds_store_2addr_b32 v111, v74, v1 offset1:1
	ds_store_b32 v111, v12 offset:8
	v_lshrrev_b16 v12, 9, v6
	v_fmac_f32_e32 v10, 0x3f5db3d7, v79
	v_fmamk_f32 v1, v60, 0xbf5db3d7, v5
	ds_store_2addr_b32 v112, v77, v3 offset1:1
	ds_store_b32 v112, v10 offset:8
	v_mul_lo_u16 v10, v12, 3
	v_fmac_f32_e32 v5, 0x3f5db3d7, v60
	v_and_b32_e32 v42, 0xffff, v106
	v_fmamk_f32 v11, v46, 0xbf5db3d7, v14
	v_fmac_f32_e32 v14, 0x3f5db3d7, v46
	ds_store_2addr_b32 v113, v80, v1 offset1:1
	ds_store_b32 v113, v5 offset:8
	v_sub_nc_u16 v5, v104, v10
	v_fmamk_f32 v3, v56, 0xbf5db3d7, v16
	v_mul_u32_u24_e32 v1, 0xaaab, v42
	v_fmac_f32_e32 v16, 0x3f5db3d7, v56
	v_fmamk_f32 v7, v48, 0xbf5db3d7, v20
	v_and_b32_e32 v149, 0xff, v5
	v_fmamk_f32 v6, v52, 0xbf5db3d7, v18
	v_fmac_f32_e32 v18, 0x3f5db3d7, v52
	ds_store_2addr_b32 v105, v63, v3 offset1:1
	ds_store_b32 v105, v16 offset:8
	ds_store_b32 v59, v18 offset:10508
	v_lshrrev_b32_e32 v16, 17, v1
	v_dual_fmac_f32 v20, 0x3f5db3d7, v48 :: v_dual_lshlrev_b32 v1, 5, v149
	ds_store_2addr_b32 v2, v54, v7 offset1:1
	ds_store_2addr_b32 v0, v58, v6 offset1:1
	ds_store_b32 v59, v20 offset:12008
	ds_store_2addr_b32 v4, v81, v11 offset1:1
	ds_store_b32 v4, v14 offset:8
	global_wb scope:SCOPE_SE
	s_wait_dscnt 0x0
	s_barrier_signal -1
	s_barrier_wait -1
	global_inv scope:SCOPE_SE
	s_clause 0x1
	global_load_b128 v[56:59], v1, s[4:5]
	global_load_b128 v[63:66], v1, s[4:5] offset:16
	v_mul_lo_u16 v0, v16, 3
	v_and_b32_e32 v47, 0xffff, v108
	v_cmp_gt_u32_e64 s0, 0x4b, v101
	s_delay_alu instid0(VALU_DEP_3) | instskip(NEXT) | instid1(VALU_DEP_1)
	v_sub_nc_u16 v0, v106, v0
	v_and_b32_e32 v151, 0xffff, v0
	s_wait_loadcnt 0x1
	v_mul_f32_e32 v81, v37, v59
	v_and_b32_e32 v46, 0xffff, v107
	v_mul_f32_e32 v80, v39, v57
	v_and_b32_e32 v49, 0xff, v101
	s_wait_loadcnt 0x0
	v_dual_mul_f32 v79, v35, v64 :: v_dual_mul_f32 v76, v33, v66
	v_mul_u32_u24_e32 v2, 0xaaab, v46
	s_delay_alu instid0(VALU_DEP_1) | instskip(SKIP_1) | instid1(VALU_DEP_2)
	v_lshrrev_b32_e32 v146, 17, v2
	v_mul_u32_u24_e32 v2, 0xaaab, v47
	v_mul_lo_u16 v0, v146, 3
	s_delay_alu instid0(VALU_DEP_2) | instskip(SKIP_1) | instid1(VALU_DEP_3)
	v_lshrrev_b32_e32 v14, 17, v2
	v_lshlrev_b32_e32 v2, 5, v151
	v_sub_nc_u16 v0, v107, v0
	s_delay_alu instid0(VALU_DEP_3)
	v_mul_lo_u16 v1, v14, 3
	s_clause 0x1
	global_load_b128 v[156:159], v2, s[4:5] offset:16
	global_load_b128 v[71:74], v2, s[4:5]
	v_and_b32_e32 v148, 0xffff, v0
	v_sub_nc_u16 v0, v108, v1
	s_delay_alu instid0(VALU_DEP_2) | instskip(SKIP_2) | instid1(VALU_DEP_1)
	v_lshlrev_b32_e32 v1, 5, v148
	global_load_b128 v[160:163], v1, s[4:5]
	v_and_b32_e32 v18, 0xffff, v0
	v_lshlrev_b32_e32 v0, 5, v18
	s_clause 0x1
	global_load_b128 v[164:167], v0, s[4:5]
	global_load_b128 v[168:171], v1, s[4:5] offset:16
	v_mul_lo_u16 v1, 0xab, v49
	v_and_b32_e32 v48, 0xffff, v115
	global_load_b128 v[172:175], v0, s[4:5] offset:16
	v_lshrrev_b16 v154, 9, v1
	v_mul_u32_u24_e32 v1, 0xaaab, v48
	s_delay_alu instid0(VALU_DEP_2) | instskip(NEXT) | instid1(VALU_DEP_2)
	v_mul_lo_u16 v2, v154, 3
	v_lshrrev_b32_e32 v20, 17, v1
	s_delay_alu instid0(VALU_DEP_2) | instskip(SKIP_1) | instid1(VALU_DEP_1)
	v_sub_nc_u16 v1, v101, v2
	s_wait_loadcnt 0x5
	v_dual_mul_f32 v68, v34, v159 :: v_dual_and_b32 v155, 0xff, v1
	s_delay_alu instid0(VALU_DEP_1)
	v_lshlrev_b32_e32 v1, 5, v155
	s_wait_loadcnt 0x4
	v_dual_mul_f32 v69, v40, v72 :: v_dual_mul_f32 v70, v38, v74
	v_mul_f32_e32 v67, v36, v157
	global_load_b128 v[176:179], v1, s[4:5]
	v_mul_lo_u16 v0, v20, 3
	s_delay_alu instid0(VALU_DEP_1) | instskip(NEXT) | instid1(VALU_DEP_1)
	v_sub_nc_u16 v0, v115, v0
	v_and_b32_e32 v147, 0xffff, v0
	s_delay_alu instid0(VALU_DEP_1)
	v_lshlrev_b32_e32 v0, 5, v147
	s_clause 0x2
	global_load_b128 v[180:183], v0, s[4:5]
	global_load_b128 v[4:7], v1, s[4:5] offset:16
	global_load_b128 v[0:3], v0, s[4:5] offset:16
	ds_load_2addr_b32 v[10:11], v117 offset0:107 offset1:232
	ds_load_2addr_b32 v[52:53], v124 offset0:89 offset1:214
	;; [unrolled: 1-line block ×8, first 2 shown]
	s_wait_dscnt 0x6
	v_dual_mul_f32 v54, v10, v57 :: v_dual_mul_f32 v57, v52, v59
	s_wait_dscnt 0x5
	v_mul_f32_e32 v59, v60, v64
	s_wait_dscnt 0x4
	v_mul_f32_e32 v64, v152, v66
	v_mul_f32_e32 v66, v11, v72
	v_mul_f32_e32 v72, v53, v74
	v_fmac_f32_e32 v80, v10, v56
	s_wait_loadcnt_dscnt 0x703
	v_mul_f32_e32 v10, v184, v161
	v_fma_f32 v141, v37, v58, -v57
	v_fmac_f32_e32 v81, v52, v58
	s_wait_dscnt 0x2
	v_mul_f32_e32 v37, v186, v163
	v_fma_f32 v142, v35, v63, -v59
	s_wait_loadcnt 0x6
	v_dual_mul_f32 v52, v32, v165 :: v_dual_mul_f32 v35, v187, v167
	v_fma_f32 v143, v39, v56, -v54
	v_dual_mul_f32 v56, v31, v161 :: v_dual_fmac_f32 v79, v60, v63
	v_dual_fmac_f32 v76, v152, v65 :: v_dual_mul_f32 v59, v29, v163
	v_fma_f32 v139, v40, v71, -v66
	s_wait_loadcnt_dscnt 0x501
	v_dual_mul_f32 v40, v30, v167 :: v_dual_mul_f32 v39, v188, v169
	v_dual_fmac_f32 v69, v11, v71 :: v_dual_fmac_f32 v70, v53, v73
	v_fma_f32 v77, v38, v73, -v72
	v_fma_f32 v71, v31, v160, -v10
	;; [unrolled: 1-line block ×4, first 2 shown]
	ds_load_b32 v31, v133
	ds_load_2addr_b32 v[29:30], v118 offset0:95 offset1:220
	v_mul_f32_e32 v74, v61, v157
	v_dual_mul_f32 v63, v27, v169 :: v_dual_fmac_f32 v68, v153, v158
	s_wait_dscnt 0x2
	v_dual_mul_f32 v11, v190, v171 :: v_dual_fmac_f32 v56, v184, v160
	v_mul_f32_e32 v75, v153, v159
	v_fma_f32 v144, v33, v65, -v64
	v_dual_mul_f32 v65, v25, v171 :: v_dual_fmac_f32 v40, v187, v166
	v_fma_f32 v78, v36, v156, -v74
	s_wait_loadcnt 0x4
	v_dual_fmac_f32 v67, v61, v156 :: v_dual_mul_f32 v54, v28, v173
	v_dual_fmac_f32 v63, v188, v168 :: v_dual_mul_f32 v10, v189, v173
	v_fma_f32 v74, v25, v170, -v11
	s_delay_alu instid0(VALU_DEP_3)
	v_dual_mul_f32 v11, v191, v175 :: v_dual_fmac_f32 v54, v189, v172
	v_fma_f32 v140, v34, v158, -v75
	v_fma_f32 v73, v27, v168, -v39
	v_fmac_f32_e32 v65, v190, v170
	v_fma_f32 v64, v28, v172, -v10
	v_fma_f32 v66, v26, v174, -v11
	v_mul_f32_e32 v33, v185, v165
	v_dual_fmac_f32 v59, v186, v162 :: v_dual_fmac_f32 v52, v185, v164
	s_delay_alu instid0(VALU_DEP_2)
	v_fma_f32 v60, v32, v164, -v33
	s_wait_loadcnt 0x3
	v_dual_mul_f32 v150, v55, v177 :: v_dual_mul_f32 v53, v26, v175
	ds_load_2addr_b32 v[27:28], v120 offset0:77 offset1:202
	ds_load_b32 v145, v134
	ds_load_b32 v75, v135
	;; [unrolled: 1-line block ×5, first 2 shown]
	ds_load_b32 v26, v114 offset:14500
	ds_load_2addr_b32 v[10:11], v119 offset0:59 offset1:184
	s_wait_dscnt 0x8
	v_dual_mul_f32 v25, v31, v177 :: v_dual_mul_f32 v32, v30, v179
	v_mul_f32_e32 v152, v24, v179
	v_fmac_f32_e32 v150, v31, v176
	v_fmac_f32_e32 v53, v191, v174
	s_delay_alu instid0(VALU_DEP_4)
	v_fma_f32 v25, v55, v176, -v25
	v_fma_f32 v24, v24, v178, -v32
	v_fmac_f32_e32 v152, v30, v178
	ds_load_b32 v157, v114
	global_wb scope:SCOPE_SE
	s_wait_loadcnt_dscnt 0x0
	s_barrier_signal -1
	s_barrier_wait -1
	global_inv scope:SCOPE_SE
	v_mul_f32_e32 v33, v29, v181
	v_mul_f32_e32 v55, v23, v181
	;; [unrolled: 1-line block ×5, first 2 shown]
	v_fma_f32 v61, v23, v180, -v33
	v_mul_f32_e32 v23, v27, v183
	s_delay_alu instid0(VALU_DEP_4) | instskip(NEXT) | instid1(VALU_DEP_2)
	v_fmac_f32_e32 v153, v28, v4
	v_fma_f32 v5, v21, v182, -v23
	v_fma_f32 v21, v22, v4, -v30
	v_mul_f32_e32 v4, v9, v7
	v_fmac_f32_e32 v55, v29, v180
	v_dual_mul_f32 v23, v11, v7 :: v_dual_mul_f32 v22, v10, v1
	v_fmac_f32_e32 v57, v27, v182
	s_delay_alu instid0(VALU_DEP_4) | instskip(NEXT) | instid1(VALU_DEP_1)
	v_dual_fmac_f32 v4, v11, v6 :: v_dual_mul_f32 v1, v8, v1
	v_fmac_f32_e32 v1, v10, v0
	v_add_f32_e32 v10, v50, v25
	v_fma_f32 v7, v9, v6, -v23
	v_mul_f32_e32 v9, v26, v3
	v_fma_f32 v6, v8, v0, -v22
	v_add_f32_e32 v0, v24, v21
	v_sub_f32_e32 v8, v25, v24
	v_sub_f32_e32 v22, v150, v4
	v_fma_f32 v156, v62, v2, -v9
	v_add_f32_e32 v28, v25, v7
	v_fma_f32 v11, -0.5, v0, v50
	v_dual_sub_f32 v9, v7, v21 :: v_dual_mul_f32 v0, v62, v3
	v_sub_f32_e32 v23, v152, v153
	s_delay_alu instid0(VALU_DEP_4) | instskip(NEXT) | instid1(VALU_DEP_3)
	v_dual_fmac_f32 v50, -0.5, v28 :: v_dual_lshlrev_b32 v27, 2, v155
	v_dual_fmac_f32 v0, v26, v2 :: v_dual_add_f32 v3, v8, v9
	v_add_f32_e32 v9, v10, v24
	v_fmamk_f32 v10, v22, 0x3f737871, v11
	v_and_b32_e32 v8, 0xffff, v154
	v_fmamk_f32 v26, v23, 0xbf737871, v50
	v_fmac_f32_e32 v50, 0x3f737871, v23
	v_fmac_f32_e32 v11, 0xbf737871, v22
	;; [unrolled: 1-line block ×3, first 2 shown]
	v_mul_u32_u24_e32 v8, 60, v8
	s_delay_alu instid0(VALU_DEP_3) | instskip(NEXT) | instid1(VALU_DEP_3)
	v_fmac_f32_e32 v11, 0xbf167918, v23
	v_dual_fmac_f32 v10, 0x3e9e377a, v3 :: v_dual_add_f32 v9, v9, v21
	s_delay_alu instid0(VALU_DEP_3) | instskip(NEXT) | instid1(VALU_DEP_3)
	v_add3_u32 v62, 0, v8, v27
	v_dual_sub_f32 v8, v24, v25 :: v_dual_fmac_f32 v11, 0x3e9e377a, v3
	s_delay_alu instid0(VALU_DEP_3) | instskip(SKIP_1) | instid1(VALU_DEP_1)
	v_dual_sub_f32 v23, v142, v144 :: v_dual_add_f32 v2, v9, v7
	v_sub_f32_e32 v9, v21, v7
	v_dual_sub_f32 v7, v25, v7 :: v_dual_add_f32 v8, v8, v9
	v_sub_f32_e32 v9, v144, v142
	v_fmac_f32_e32 v26, 0x3f167918, v22
	v_fmac_f32_e32 v50, 0xbf167918, v22
	v_sub_f32_e32 v22, v80, v76
	s_delay_alu instid0(VALU_DEP_3) | instskip(NEXT) | instid1(VALU_DEP_3)
	v_fmac_f32_e32 v26, 0x3e9e377a, v8
	v_fmac_f32_e32 v50, 0x3e9e377a, v8
	ds_store_2addr_b32 v62, v2, v10 offset1:3
	ds_store_2addr_b32 v62, v26, v50 offset0:6 offset1:9
	v_and_b32_e32 v2, 0xffff, v12
	v_add_f32_e32 v12, v143, v144
	v_sub_f32_e32 v8, v143, v141
	s_delay_alu instid0(VALU_DEP_3) | instskip(NEXT) | instid1(VALU_DEP_2)
	v_mul_u32_u24_e32 v2, 60, v2
	v_dual_add_f32 v3, v8, v9 :: v_dual_add_f32 v8, v141, v142
	v_lshlrev_b32_e32 v9, 2, v149
	v_sub_f32_e32 v149, v24, v21
	s_delay_alu instid0(VALU_DEP_3) | instskip(NEXT) | instid1(VALU_DEP_3)
	v_fma_f32 v8, -0.5, v8, v51
	v_add3_u32 v50, 0, v2, v9
	v_sub_f32_e32 v2, v81, v79
	v_dual_add_f32 v10, v51, v143 :: v_dual_fmac_f32 v51, -0.5, v12
	s_delay_alu instid0(VALU_DEP_1) | instskip(SKIP_1) | instid1(VALU_DEP_3)
	v_fmamk_f32 v26, v2, 0xbf737871, v51
	v_fmac_f32_e32 v51, 0x3f737871, v2
	v_add_f32_e32 v9, v10, v141
	s_delay_alu instid0(VALU_DEP_1) | instskip(NEXT) | instid1(VALU_DEP_1)
	v_dual_add_f32 v9, v9, v142 :: v_dual_fmamk_f32 v10, v22, 0x3f737871, v8
	v_dual_fmac_f32 v8, 0xbf737871, v22 :: v_dual_add_f32 v9, v9, v144
	s_delay_alu instid0(VALU_DEP_2) | instskip(NEXT) | instid1(VALU_DEP_2)
	v_fmac_f32_e32 v10, 0x3f167918, v2
	v_fmac_f32_e32 v8, 0xbf167918, v2
	s_delay_alu instid0(VALU_DEP_2) | instskip(NEXT) | instid1(VALU_DEP_2)
	v_fmac_f32_e32 v10, 0x3e9e377a, v3
	v_dual_fmac_f32 v8, 0x3e9e377a, v3 :: v_dual_add_f32 v3, v77, v78
	v_fmac_f32_e32 v26, 0x3f167918, v22
	v_dual_fmac_f32 v51, 0xbf167918, v22 :: v_dual_sub_f32 v22, v78, v140
	s_delay_alu instid0(VALU_DEP_3) | instskip(SKIP_1) | instid1(VALU_DEP_1)
	v_fma_f32 v3, -0.5, v3, v19
	v_sub_f32_e32 v12, v141, v143
	v_dual_sub_f32 v141, v141, v142 :: v_dual_add_f32 v12, v12, v23
	s_delay_alu instid0(VALU_DEP_1)
	v_fmac_f32_e32 v26, 0x3e9e377a, v12
	v_fmac_f32_e32 v51, 0x3e9e377a, v12
	ds_store_b32 v62, v11 offset:48
	ds_store_2addr_b32 v50, v9, v10 offset1:3
	ds_store_2addr_b32 v50, v26, v51 offset0:6 offset1:9
	v_lshlrev_b32_e32 v9, 2, v151
	v_mul_u32_u24_e32 v10, 60, v16
	v_dual_add_f32 v11, v19, v139 :: v_dual_sub_f32 v16, v69, v68
	v_sub_f32_e32 v2, v139, v77
	s_delay_alu instid0(VALU_DEP_3) | instskip(SKIP_1) | instid1(VALU_DEP_4)
	v_add3_u32 v51, 0, v10, v9
	v_dual_sub_f32 v9, v70, v67 :: v_dual_sub_f32 v12, v140, v78
	v_dual_add_f32 v10, v11, v77 :: v_dual_fmamk_f32 v11, v16, 0x3f737871, v3
	v_fmac_f32_e32 v3, 0xbf737871, v16
	s_delay_alu instid0(VALU_DEP_3) | instskip(NEXT) | instid1(VALU_DEP_3)
	v_add_f32_e32 v2, v2, v12
	v_dual_add_f32 v12, v139, v140 :: v_dual_fmac_f32 v11, 0x3f167918, v9
	s_delay_alu instid0(VALU_DEP_3) | instskip(NEXT) | instid1(VALU_DEP_2)
	v_fmac_f32_e32 v3, 0xbf167918, v9
	v_dual_fmac_f32 v19, -0.5, v12 :: v_dual_sub_f32 v12, v77, v139
	s_delay_alu instid0(VALU_DEP_3) | instskip(NEXT) | instid1(VALU_DEP_3)
	v_fmac_f32_e32 v11, 0x3e9e377a, v2
	v_dual_fmac_f32 v3, 0x3e9e377a, v2 :: v_dual_add_f32 v2, v72, v73
	s_delay_alu instid0(VALU_DEP_3) | instskip(SKIP_3) | instid1(VALU_DEP_4)
	v_fmamk_f32 v23, v9, 0xbf737871, v19
	v_fmac_f32_e32 v19, 0x3f737871, v9
	v_dual_sub_f32 v9, v71, v72 :: v_dual_add_f32 v12, v12, v22
	v_sub_f32_e32 v77, v77, v78
	v_fmac_f32_e32 v23, 0x3f167918, v16
	s_delay_alu instid0(VALU_DEP_4) | instskip(SKIP_1) | instid1(VALU_DEP_3)
	v_dual_fmac_f32 v19, 0xbf167918, v16 :: v_dual_add_f32 v10, v10, v78
	v_fma_f32 v16, -0.5, v2, v17
	v_fmac_f32_e32 v23, 0x3e9e377a, v12
	s_delay_alu instid0(VALU_DEP_3) | instskip(NEXT) | instid1(VALU_DEP_4)
	v_fmac_f32_e32 v19, 0x3e9e377a, v12
	v_add_f32_e32 v10, v10, v140
	ds_store_b32 v50, v8 offset:48
	ds_store_2addr_b32 v51, v10, v11 offset1:3
	ds_store_2addr_b32 v51, v23, v19 offset0:6 offset1:9
	v_sub_f32_e32 v19, v56, v65
	v_sub_f32_e32 v12, v74, v73
	v_mul_u32_u24_e32 v10, 60, v146
	v_add_f32_e32 v11, v17, v71
	s_delay_alu instid0(VALU_DEP_3) | instskip(SKIP_1) | instid1(VALU_DEP_1)
	v_add_f32_e32 v8, v9, v12
	v_lshlrev_b32_e32 v9, 2, v148
	v_add3_u32 v2, 0, v10, v9
	v_sub_f32_e32 v9, v59, v63
	v_add_f32_e32 v12, v71, v74
	v_add_f32_e32 v10, v11, v72
	v_fmamk_f32 v11, v19, 0x3f737871, v16
	s_delay_alu instid0(VALU_DEP_3) | instskip(NEXT) | instid1(VALU_DEP_2)
	v_dual_fmac_f32 v16, 0xbf737871, v19 :: v_dual_fmac_f32 v17, -0.5, v12
	v_fmac_f32_e32 v11, 0x3f167918, v9
	s_delay_alu instid0(VALU_DEP_2) | instskip(NEXT) | instid1(VALU_DEP_3)
	v_fmac_f32_e32 v16, 0xbf167918, v9
	v_fmamk_f32 v23, v9, 0xbf737871, v17
	v_dual_sub_f32 v22, v73, v74 :: v_dual_fmac_f32 v17, 0x3f737871, v9
	s_delay_alu instid0(VALU_DEP_4) | instskip(NEXT) | instid1(VALU_DEP_3)
	v_dual_sub_f32 v12, v72, v71 :: v_dual_fmac_f32 v11, 0x3e9e377a, v8
	v_dual_add_f32 v10, v10, v73 :: v_dual_fmac_f32 v23, 0x3f167918, v19
	s_delay_alu instid0(VALU_DEP_2) | instskip(SKIP_1) | instid1(VALU_DEP_3)
	v_dual_fmac_f32 v17, 0xbf167918, v19 :: v_dual_add_f32 v12, v12, v22
	v_sub_f32_e32 v9, v60, v58
	v_add_f32_e32 v10, v10, v74
	v_fmac_f32_e32 v16, 0x3e9e377a, v8
	s_delay_alu instid0(VALU_DEP_4) | instskip(SKIP_2) | instid1(VALU_DEP_1)
	v_fmac_f32_e32 v23, 0x3e9e377a, v12
	v_fmac_f32_e32 v17, 0x3e9e377a, v12
	v_sub_f32_e32 v12, v66, v64
	v_add_f32_e32 v8, v9, v12
	v_add_f32_e32 v12, v60, v66
	ds_store_b32 v51, v3 offset:48
	ds_store_2addr_b32 v2, v10, v11 offset1:3
	ds_store_2addr_b32 v2, v23, v17 offset0:6 offset1:9
	v_add_f32_e32 v3, v58, v64
	v_lshlrev_b32_e32 v9, 2, v18
	v_mul_u32_u24_e32 v10, 60, v14
	v_dual_add_f32 v11, v15, v60 :: v_dual_sub_f32 v18, v64, v66
	s_delay_alu instid0(VALU_DEP_4) | instskip(SKIP_1) | instid1(VALU_DEP_4)
	v_fma_f32 v14, -0.5, v3, v15
	v_sub_f32_e32 v17, v52, v53
	v_add3_u32 v3, 0, v10, v9
	v_sub_f32_e32 v9, v40, v54
	v_dual_fmac_f32 v15, -0.5, v12 :: v_dual_add_f32 v10, v11, v58
	s_delay_alu instid0(VALU_DEP_4) | instskip(NEXT) | instid1(VALU_DEP_2)
	v_dual_fmamk_f32 v11, v17, 0x3f737871, v14 :: v_dual_sub_f32 v12, v58, v60
	v_dual_fmac_f32 v14, 0xbf737871, v17 :: v_dual_fmamk_f32 v19, v9, 0xbf737871, v15
	s_delay_alu instid0(VALU_DEP_3) | instskip(NEXT) | instid1(VALU_DEP_3)
	v_dual_add_f32 v10, v10, v64 :: v_dual_fmac_f32 v15, 0x3f737871, v9
	v_dual_fmac_f32 v11, 0x3f167918, v9 :: v_dual_add_f32 v12, v12, v18
	s_delay_alu instid0(VALU_DEP_2) | instskip(NEXT) | instid1(VALU_DEP_3)
	v_dual_fmac_f32 v19, 0x3f167918, v17 :: v_dual_add_f32 v10, v10, v66
	v_fmac_f32_e32 v15, 0xbf167918, v17
	s_delay_alu instid0(VALU_DEP_3) | instskip(SKIP_1) | instid1(VALU_DEP_4)
	v_fmac_f32_e32 v11, 0x3e9e377a, v8
	v_fmac_f32_e32 v14, 0xbf167918, v9
	;; [unrolled: 1-line block ×3, first 2 shown]
	ds_store_b32 v2, v16 offset:48
	v_dual_fmac_f32 v15, 0x3e9e377a, v12 :: v_dual_sub_f32 v12, v156, v6
	ds_store_2addr_b32 v3, v10, v11 offset1:3
	ds_store_2addr_b32 v3, v19, v15 offset0:6 offset1:9
	v_sub_f32_e32 v15, v55, v0
	v_dual_sub_f32 v9, v61, v5 :: v_dual_fmac_f32 v14, 0x3e9e377a, v8
	v_dual_add_f32 v11, v13, v61 :: v_dual_lshlrev_b32 v10, 2, v147
	v_sub_f32_e32 v16, v6, v156
	s_delay_alu instid0(VALU_DEP_3)
	v_add_f32_e32 v8, v9, v12
	v_add_f32_e32 v9, v5, v6
	v_mul_u32_u24_e32 v12, 60, v20
	ds_store_b32 v3, v14 offset:48
	v_sub_f32_e32 v58, v58, v64
	v_fma_f32 v9, -0.5, v9, v13
	v_add3_u32 v147, 0, v12, v10
	v_sub_f32_e32 v10, v57, v1
	s_delay_alu instid0(VALU_DEP_3) | instskip(SKIP_2) | instid1(VALU_DEP_2)
	v_fmamk_f32 v12, v15, 0x3f737871, v9
	v_dual_add_f32 v11, v11, v5 :: v_dual_add_f32 v14, v61, v156
	v_fmac_f32_e32 v9, 0xbf737871, v15
	v_add_f32_e32 v11, v11, v6
	s_delay_alu instid0(VALU_DEP_3) | instskip(SKIP_1) | instid1(VALU_DEP_4)
	v_dual_fmac_f32 v13, -0.5, v14 :: v_dual_sub_f32 v14, v5, v61
	v_fmac_f32_e32 v12, 0x3f167918, v10
	v_fmac_f32_e32 v9, 0xbf167918, v10
	s_delay_alu instid0(VALU_DEP_4) | instskip(NEXT) | instid1(VALU_DEP_4)
	v_add_f32_e32 v11, v11, v156
	v_fmamk_f32 v17, v10, 0xbf737871, v13
	v_dual_fmac_f32 v13, 0x3f737871, v10 :: v_dual_add_f32 v14, v14, v16
	v_fmac_f32_e32 v12, 0x3e9e377a, v8
	s_delay_alu instid0(VALU_DEP_3) | instskip(NEXT) | instid1(VALU_DEP_3)
	v_dual_add_f32 v10, v157, v150 :: v_dual_fmac_f32 v17, 0x3f167918, v15
	v_dual_sub_f32 v16, v4, v153 :: v_dual_fmac_f32 v13, 0xbf167918, v15
	s_delay_alu instid0(VALU_DEP_2) | instskip(NEXT) | instid1(VALU_DEP_3)
	v_dual_add_f32 v15, v152, v153 :: v_dual_add_f32 v10, v10, v152
	v_fmac_f32_e32 v17, 0x3e9e377a, v14
	v_sub_f32_e32 v5, v5, v6
	s_delay_alu instid0(VALU_DEP_3) | instskip(SKIP_1) | instid1(VALU_DEP_1)
	v_fma_f32 v148, -0.5, v15, v157
	v_sub_f32_e32 v15, v150, v152
	v_dual_add_f32 v154, v15, v16 :: v_dual_fmac_f32 v13, 0x3e9e377a, v14
	v_add_f32_e32 v14, v150, v4
	v_dual_fmac_f32 v9, 0x3e9e377a, v8 :: v_dual_add_f32 v8, v10, v153
	v_sub_f32_e32 v150, v152, v150
	s_delay_alu instid0(VALU_DEP_2) | instskip(SKIP_2) | instid1(VALU_DEP_2)
	v_add_f32_e32 v155, v8, v4
	v_dual_sub_f32 v4, v153, v4 :: v_dual_fmamk_f32 v151, v7, 0xbf737871, v148
	v_dual_fmac_f32 v148, 0x3f737871, v7 :: v_dual_fmac_f32 v157, -0.5, v14
	v_add_f32_e32 v4, v150, v4
	s_delay_alu instid0(VALU_DEP_2) | instskip(NEXT) | instid1(VALU_DEP_3)
	v_fmac_f32_e32 v148, 0x3f167918, v149
	v_fmamk_f32 v150, v149, 0x3f737871, v157
	v_fmac_f32_e32 v157, 0xbf737871, v149
	v_fmac_f32_e32 v151, 0xbf167918, v149
	s_delay_alu instid0(VALU_DEP_4) | instskip(NEXT) | instid1(VALU_DEP_4)
	v_fmac_f32_e32 v148, 0x3e9e377a, v154
	v_fmac_f32_e32 v150, 0xbf167918, v7
	s_delay_alu instid0(VALU_DEP_4) | instskip(SKIP_1) | instid1(VALU_DEP_3)
	v_fmac_f32_e32 v157, 0x3f167918, v7
	v_add_f32_e32 v7, v81, v79
	v_dual_fmac_f32 v151, 0x3e9e377a, v154 :: v_dual_fmac_f32 v150, 0x3e9e377a, v4
	s_delay_alu instid0(VALU_DEP_3)
	v_fmac_f32_e32 v157, 0x3e9e377a, v4
	v_dual_sub_f32 v4, v143, v144 :: v_dual_sub_f32 v143, v80, v81
	v_sub_f32_e32 v144, v76, v79
	v_fma_f32 v7, -0.5, v7, v145
	ds_store_2addr_b32 v147, v11, v12 offset1:3
	ds_store_2addr_b32 v147, v17, v13 offset0:6 offset1:9
	ds_store_b32 v147, v9 offset:48
	global_wb scope:SCOPE_SE
	s_wait_dscnt 0x0
	s_barrier_signal -1
	s_barrier_wait -1
	global_inv scope:SCOPE_SE
	ds_load_b32 v35, v114
	ds_load_b32 v33, v135
	;; [unrolled: 1-line block ×7, first 2 shown]
	ds_load_b32 v39, v114 offset:14500
	ds_load_2addr_b32 v[12:13], v118 offset0:95 offset1:220
	ds_load_2addr_b32 v[10:11], v120 offset0:77 offset1:202
	;; [unrolled: 1-line block ×11, first 2 shown]
	global_wb scope:SCOPE_SE
	s_wait_dscnt 0x0
	s_barrier_signal -1
	s_barrier_wait -1
	global_inv scope:SCOPE_SE
	ds_store_2addr_b32 v62, v155, v151 offset1:3
	v_add_f32_e32 v151, v145, v80
	v_add_f32_e32 v142, v143, v144
	v_fmamk_f32 v144, v4, 0xbf737871, v7
	v_fmac_f32_e32 v7, 0x3f737871, v4
	s_delay_alu instid0(VALU_DEP_4) | instskip(SKIP_1) | instid1(VALU_DEP_4)
	v_add_f32_e32 v143, v151, v81
	v_add_nc_u32_e32 v151, 0x1a00, v114
	v_dual_fmac_f32 v144, 0xbf167918, v141 :: v_dual_add_f32 v149, v80, v76
	v_sub_f32_e32 v80, v81, v80
	s_delay_alu instid0(VALU_DEP_2) | instskip(NEXT) | instid1(VALU_DEP_3)
	v_dual_sub_f32 v81, v79, v76 :: v_dual_fmac_f32 v144, 0x3e9e377a, v142
	v_fmac_f32_e32 v145, -0.5, v149
	s_delay_alu instid0(VALU_DEP_2) | instskip(SKIP_1) | instid1(VALU_DEP_1)
	v_add_f32_e32 v80, v80, v81
	v_add_f32_e32 v81, v75, v69
	v_dual_add_f32 v79, v143, v79 :: v_dual_add_f32 v78, v81, v70
	s_delay_alu instid0(VALU_DEP_1) | instskip(SKIP_2) | instid1(VALU_DEP_2)
	v_dual_add_f32 v76, v79, v76 :: v_dual_sub_f32 v79, v68, v67
	v_fmamk_f32 v149, v141, 0x3f737871, v145
	v_fmac_f32_e32 v145, 0xbf737871, v141
	v_fmac_f32_e32 v149, 0xbf167918, v4
	s_delay_alu instid0(VALU_DEP_2) | instskip(SKIP_1) | instid1(VALU_DEP_3)
	v_fmac_f32_e32 v145, 0x3f167918, v4
	v_sub_f32_e32 v4, v139, v140
	v_fmac_f32_e32 v149, 0x3e9e377a, v80
	s_delay_alu instid0(VALU_DEP_3)
	v_fmac_f32_e32 v145, 0x3e9e377a, v80
	ds_store_2addr_b32 v62, v150, v157 offset0:6 offset1:9
	ds_store_b32 v62, v148 offset:48
	ds_store_2addr_b32 v50, v76, v144 offset1:3
	ds_store_2addr_b32 v50, v149, v145 offset0:6 offset1:9
	v_add_f32_e32 v62, v70, v67
	v_sub_f32_e32 v76, v69, v70
	v_add_f32_e32 v80, v69, v68
	s_delay_alu instid0(VALU_DEP_3) | instskip(SKIP_1) | instid1(VALU_DEP_4)
	v_fma_f32 v62, -0.5, v62, v75
	v_dual_sub_f32 v69, v70, v69 :: v_dual_sub_f32 v70, v67, v68
	v_add_f32_e32 v76, v76, v79
	v_add_f32_e32 v67, v78, v67
	s_delay_alu instid0(VALU_DEP_4) | instskip(NEXT) | instid1(VALU_DEP_4)
	v_fmamk_f32 v79, v4, 0xbf737871, v62
	v_dual_fmac_f32 v62, 0x3f737871, v4 :: v_dual_add_f32 v69, v69, v70
	s_delay_alu instid0(VALU_DEP_3) | instskip(SKIP_1) | instid1(VALU_DEP_1)
	v_dual_add_f32 v67, v67, v68 :: v_dual_sub_f32 v68, v56, v59
	v_fmac_f32_e32 v7, 0x3f167918, v141
	v_fmac_f32_e32 v7, 0x3e9e377a, v142
	ds_store_b32 v50, v7 offset:48
	v_dual_sub_f32 v50, v71, v74 :: v_dual_fmac_f32 v75, -0.5, v80
	v_add_f32_e32 v7, v38, v56
	v_dual_add_f32 v71, v56, v65 :: v_dual_sub_f32 v56, v59, v56
	s_delay_alu instid0(VALU_DEP_3) | instskip(NEXT) | instid1(VALU_DEP_1)
	v_fmamk_f32 v80, v77, 0x3f737871, v75
	v_dual_fmac_f32 v80, 0xbf167918, v4 :: v_dual_fmac_f32 v79, 0xbf167918, v77
	v_fmac_f32_e32 v62, 0x3f167918, v77
	s_delay_alu instid0(VALU_DEP_2) | instskip(NEXT) | instid1(VALU_DEP_2)
	v_dual_fmac_f32 v80, 0x3e9e377a, v69 :: v_dual_fmac_f32 v79, 0x3e9e377a, v76
	v_fmac_f32_e32 v62, 0x3e9e377a, v76
	ds_store_2addr_b32 v51, v67, v79 offset1:3
	v_sub_f32_e32 v67, v72, v73
	v_fmac_f32_e32 v75, 0xbf737871, v77
	ds_store_b32 v51, v62 offset:48
	v_dual_fmac_f32 v75, 0x3f167918, v4 :: v_dual_add_f32 v4, v59, v63
	s_delay_alu instid0(VALU_DEP_1) | instskip(SKIP_1) | instid1(VALU_DEP_2)
	v_fma_f32 v4, -0.5, v4, v38
	v_fmac_f32_e32 v38, -0.5, v71
	v_fmamk_f32 v70, v50, 0xbf737871, v4
	v_fmac_f32_e32 v4, 0x3f737871, v50
	s_delay_alu instid0(VALU_DEP_1) | instskip(SKIP_4) | instid1(VALU_DEP_4)
	v_fmac_f32_e32 v4, 0x3f167918, v67
	v_add_f32_e32 v7, v7, v59
	v_fmac_f32_e32 v75, 0x3e9e377a, v69
	v_sub_f32_e32 v69, v65, v63
	v_sub_f32_e32 v59, v63, v65
	v_add_f32_e32 v7, v7, v63
	v_fmamk_f32 v63, v67, 0x3f737871, v38
	v_fmac_f32_e32 v38, 0xbf737871, v67
	s_delay_alu instid0(VALU_DEP_4)
	v_add_f32_e32 v56, v56, v59
	v_add_f32_e32 v59, v52, v53
	;; [unrolled: 1-line block ×3, first 2 shown]
	v_fmac_f32_e32 v63, 0xbf167918, v50
	v_fmac_f32_e32 v38, 0x3f167918, v50
	;; [unrolled: 1-line block ×3, first 2 shown]
	v_sub_f32_e32 v50, v60, v66
	v_add_f32_e32 v60, v36, v52
	v_add_f32_e32 v68, v68, v69
	v_fmac_f32_e32 v38, 0x3e9e377a, v56
	s_delay_alu instid0(VALU_DEP_2)
	v_fmac_f32_e32 v70, 0x3e9e377a, v68
	v_fmac_f32_e32 v4, 0x3e9e377a, v68
	ds_store_2addr_b32 v51, v80, v75 offset0:6 offset1:9
	v_sub_f32_e32 v51, v52, v40
	ds_store_2addr_b32 v2, v7, v70 offset1:3
	v_add_f32_e32 v7, v40, v54
	s_delay_alu instid0(VALU_DEP_1) | instskip(SKIP_3) | instid1(VALU_DEP_3)
	v_fma_f32 v7, -0.5, v7, v36
	v_dual_fmac_f32 v36, -0.5, v59 :: v_dual_add_f32 v59, v60, v40
	v_sub_f32_e32 v40, v40, v52
	v_sub_f32_e32 v52, v54, v53
	v_fmamk_f32 v60, v58, 0x3f737871, v36
	v_fmac_f32_e32 v36, 0xbf737871, v58
	s_delay_alu instid0(VALU_DEP_3) | instskip(NEXT) | instid1(VALU_DEP_3)
	v_add_f32_e32 v40, v40, v52
	v_fmac_f32_e32 v60, 0xbf167918, v50
	s_delay_alu instid0(VALU_DEP_3) | instskip(SKIP_2) | instid1(VALU_DEP_4)
	v_fmac_f32_e32 v36, 0x3f167918, v50
	v_dual_fmac_f32 v63, 0x3e9e377a, v56 :: v_dual_sub_f32 v56, v53, v54
	v_add_f32_e32 v54, v59, v54
	v_fmac_f32_e32 v60, 0x3e9e377a, v40
	s_delay_alu instid0(VALU_DEP_4)
	v_fmac_f32_e32 v36, 0x3e9e377a, v40
	ds_store_2addr_b32 v2, v63, v38 offset0:6 offset1:9
	ds_store_b32 v2, v4 offset:48
	v_dual_add_f32 v51, v51, v56 :: v_dual_fmamk_f32 v56, v50, 0xbf737871, v7
	v_dual_fmac_f32 v7, 0x3f737871, v50 :: v_dual_add_f32 v50, v37, v55
	v_mul_u32_u24_e32 v2, 0x8889, v46
	s_delay_alu instid0(VALU_DEP_3) | instskip(NEXT) | instid1(VALU_DEP_3)
	v_fmac_f32_e32 v56, 0xbf167918, v58
	v_dual_fmac_f32 v7, 0x3f167918, v58 :: v_dual_add_f32 v50, v50, v57
	s_delay_alu instid0(VALU_DEP_2) | instskip(NEXT) | instid1(VALU_DEP_2)
	v_dual_add_f32 v53, v54, v53 :: v_dual_fmac_f32 v56, 0x3e9e377a, v51
	v_fmac_f32_e32 v7, 0x3e9e377a, v51
	v_sub_f32_e32 v51, v55, v57
	s_delay_alu instid0(VALU_DEP_4)
	v_add_f32_e32 v50, v50, v1
	v_sub_f32_e32 v54, v0, v1
	v_sub_f32_e32 v40, v61, v156
	ds_store_2addr_b32 v3, v53, v56 offset1:3
	ds_store_2addr_b32 v3, v60, v36 offset0:6 offset1:9
	ds_store_b32 v3, v7 offset:48
	v_add_f32_e32 v51, v51, v54
	v_add_f32_e32 v58, v55, v0
	;; [unrolled: 1-line block ×3, first 2 shown]
	v_sub_f32_e32 v54, v57, v55
	s_delay_alu instid0(VALU_DEP_2) | instskip(NEXT) | instid1(VALU_DEP_1)
	v_fma_f32 v6, -0.5, v52, v37
	v_fmamk_f32 v55, v40, 0xbf737871, v6
	v_fmac_f32_e32 v37, -0.5, v58
	s_delay_alu instid0(VALU_DEP_2) | instskip(NEXT) | instid1(VALU_DEP_2)
	v_fmac_f32_e32 v55, 0xbf167918, v5
	v_fmamk_f32 v59, v5, 0x3f737871, v37
	v_add_f32_e32 v57, v50, v0
	v_dual_sub_f32 v0, v1, v0 :: v_dual_fmac_f32 v37, 0xbf737871, v5
	v_mul_lo_u16 v1, 0x89, v41
	s_delay_alu instid0(VALU_DEP_4) | instskip(NEXT) | instid1(VALU_DEP_3)
	v_fmac_f32_e32 v59, 0xbf167918, v40
	v_dual_fmac_f32 v55, 0x3e9e377a, v51 :: v_dual_add_f32 v0, v54, v0
	s_delay_alu instid0(VALU_DEP_4) | instskip(NEXT) | instid1(VALU_DEP_4)
	v_fmac_f32_e32 v37, 0x3f167918, v40
	v_lshrrev_b16 v52, 11, v1
	v_lshrrev_b32_e32 v54, 19, v2
	v_mul_u32_u24_e32 v2, 0x8889, v47
	v_fmac_f32_e32 v59, 0x3e9e377a, v0
	v_fmac_f32_e32 v37, 0x3e9e377a, v0
	v_mul_lo_u16 v1, v52, 15
	v_mul_lo_u16 v3, v54, 15
	s_delay_alu instid0(VALU_DEP_2) | instskip(NEXT) | instid1(VALU_DEP_1)
	v_sub_nc_u16 v0, v104, v1
	v_and_b32_e32 v58, 0xff, v0
	s_delay_alu instid0(VALU_DEP_1) | instskip(NEXT) | instid1(VALU_DEP_1)
	v_dual_fmac_f32 v6, 0x3f737871, v40 :: v_dual_lshlrev_b32 v1, 5, v58
	v_fmac_f32_e32 v6, 0x3f167918, v5
	v_mul_u32_u24_e32 v5, 0x8889, v42
	s_delay_alu instid0(VALU_DEP_2)
	v_fmac_f32_e32 v6, 0x3e9e377a, v51
	ds_store_2addr_b32 v147, v57, v55 offset1:3
	ds_store_2addr_b32 v147, v59, v37 offset0:6 offset1:9
	ds_store_b32 v147, v6 offset:48
	global_wb scope:SCOPE_SE
	s_wait_dscnt 0x0
	s_barrier_signal -1
	s_barrier_wait -1
	global_inv scope:SCOPE_SE
	s_clause 0x1
	global_load_b128 v[64:67], v1, s[4:5] offset:96
	global_load_b128 v[78:81], v1, s[4:5] offset:112
	v_lshrrev_b32_e32 v50, 19, v5
	v_lshrrev_b32_e32 v51, 19, v2
	v_sub_nc_u16 v1, v107, v3
	s_delay_alu instid0(VALU_DEP_3) | instskip(NEXT) | instid1(VALU_DEP_3)
	v_mul_lo_u16 v0, v50, 15
	v_mul_lo_u16 v2, v51, 15
	s_delay_alu instid0(VALU_DEP_3) | instskip(NEXT) | instid1(VALU_DEP_3)
	v_and_b32_e32 v59, 0xffff, v1
	v_sub_nc_u16 v0, v106, v0
	s_delay_alu instid0(VALU_DEP_2) | instskip(NEXT) | instid1(VALU_DEP_2)
	v_lshlrev_b32_e32 v1, 5, v59
	v_and_b32_e32 v55, 0xffff, v0
	s_clause 0x1
	global_load_b128 v[147:150], v1, s[4:5] offset:96
	global_load_b128 v[165:168], v1, s[4:5] offset:112
	v_mul_u32_u24_e32 v1, 0x8889, v48
	v_lshlrev_b32_e32 v0, 5, v55
	s_delay_alu instid0(VALU_DEP_2)
	v_lshrrev_b32_e32 v48, 19, v1
	s_clause 0x1
	global_load_b128 v[68:71], v0, s[4:5] offset:96
	global_load_b128 v[139:142], v0, s[4:5] offset:112
	v_sub_nc_u16 v0, v108, v2
	v_mul_lo_u16 v2, 0x89, v49
	v_mul_lo_u16 v1, v48, 15
	s_delay_alu instid0(VALU_DEP_3) | instskip(NEXT) | instid1(VALU_DEP_3)
	v_and_b32_e32 v53, 0xffff, v0
	v_lshrrev_b16 v62, 11, v2
	s_delay_alu instid0(VALU_DEP_1)
	v_mul_lo_u16 v2, v62, 15
	s_wait_loadcnt 0x5
	v_mul_f32_e32 v76, v26, v67
	v_lshlrev_b32_e32 v0, 5, v53
	v_mul_f32_e32 v74, v28, v65
	s_clause 0x1
	global_load_b128 v[161:164], v0, s[4:5] offset:96
	global_load_b128 v[169:172], v0, s[4:5] offset:112
	v_sub_nc_u16 v0, v101, v2
	s_wait_loadcnt 0x6
	s_delay_alu instid0(VALU_DEP_1) | instskip(SKIP_1) | instid1(VALU_DEP_2)
	v_dual_mul_f32 v152, v24, v81 :: v_dual_and_b32 v63, 0xff, v0
	v_sub_nc_u16 v0, v115, v1
	v_lshlrev_b32_e32 v1, 5, v63
	s_delay_alu instid0(VALU_DEP_2)
	v_and_b32_e32 v49, 0xffff, v0
	global_load_b128 v[173:176], v1, s[4:5] offset:96
	v_lshlrev_b32_e32 v0, 5, v49
	s_clause 0x2
	global_load_b128 v[177:180], v0, s[4:5] offset:96
	global_load_b128 v[4:7], v1, s[4:5] offset:112
	;; [unrolled: 1-line block ×3, first 2 shown]
	ds_load_2addr_b32 v[37:38], v117 offset0:107 offset1:232
	ds_load_2addr_b32 v[56:57], v124 offset0:89 offset1:214
	ds_load_2addr_b32 v[60:61], v122 offset0:71 offset1:196
	ds_load_2addr_b32 v[143:144], v123 offset0:53 offset1:178
	s_wait_dscnt 0x3
	v_mul_f32_e32 v36, v37, v65
	s_wait_dscnt 0x2
	v_mul_f32_e32 v40, v56, v67
	v_fmac_f32_e32 v74, v37, v64
	s_wait_loadcnt 0x7
	v_dual_fmac_f32 v76, v56, v66 :: v_dual_mul_f32 v37, v27, v71
	v_fma_f32 v158, v28, v64, -v36
	v_fma_f32 v77, v26, v66, -v40
	v_mul_f32_e32 v26, v38, v69
	ds_load_2addr_b32 v[64:65], v127 offset0:101 offset1:226
	ds_load_2addr_b32 v[66:67], v128 offset0:65 offset1:190
	v_mul_f32_e32 v28, v57, v71
	v_fmac_f32_e32 v37, v57, v70
	v_fma_f32 v72, v29, v68, -v26
	s_wait_loadcnt_dscnt 0x603
	v_dual_mul_f32 v26, v60, v79 :: v_dual_mul_f32 v71, v25, v142
	ds_load_2addr_b32 v[56:57], v130 offset0:83 offset1:208
	v_mul_f32_e32 v156, v22, v79
	v_mul_f32_e32 v36, v29, v69
	v_fma_f32 v159, v22, v78, -v26
	s_wait_dscnt 0x3
	v_dual_fmac_f32 v71, v144, v141 :: v_dual_mul_f32 v22, v61, v140
	v_fma_f32 v47, v27, v70, -v28
	v_mul_f32_e32 v27, v143, v81
	v_mul_f32_e32 v69, v23, v140
	v_fmac_f32_e32 v36, v38, v68
	v_fma_f32 v73, v23, v139, -v22
	v_mul_f32_e32 v22, v144, v142
	v_fma_f32 v160, v24, v80, -v27
	v_mul_f32_e32 v26, v18, v148
	s_wait_dscnt 0x1
	v_mul_f32_e32 v24, v66, v166
	v_mul_f32_e32 v38, v16, v166
	v_fma_f32 v157, v25, v141, -v22
	v_dual_mul_f32 v22, v64, v148 :: v_dual_fmac_f32 v69, v61, v139
	s_delay_alu instid0(VALU_DEP_4)
	v_fma_f32 v68, v16, v165, -v24
	ds_load_b32 v24, v133
	v_fmac_f32_e32 v38, v66, v165
	v_fma_f32 v70, v18, v147, -v22
	s_wait_dscnt 0x1
	v_dual_mul_f32 v23, v56, v150 :: v_dual_mul_f32 v40, v14, v168
	v_add_nc_u32_e32 v165, 0x1600, v114
	v_add_nc_u32_e32 v142, 0x3200, v114
	s_delay_alu instid0(VALU_DEP_3) | instskip(SKIP_4) | instid1(VALU_DEP_3)
	v_fma_f32 v46, v20, v149, -v23
	s_wait_loadcnt 0x5
	v_mul_f32_e32 v22, v65, v162
	v_mul_f32_e32 v18, v19, v162
	v_add_nc_u32_e32 v162, 0x600, v114
	v_fma_f32 v22, v19, v161, -v22
	s_delay_alu instid0(VALU_DEP_3)
	v_fmac_f32_e32 v18, v65, v161
	v_dual_mul_f32 v19, v21, v164 :: v_dual_fmac_f32 v156, v60, v78
	ds_load_2addr_b32 v[60:61], v132 offset0:47 offset1:172
	ds_load_2addr_b32 v[65:66], v118 offset0:95 offset1:220
	v_mul_f32_e32 v28, v20, v150
	v_mul_f32_e32 v20, v57, v164
	v_dual_fmac_f32 v19, v57, v163 :: v_dual_add_nc_u32 v164, 0x1200, v114
	s_wait_loadcnt 0x3
	v_mul_f32_e32 v57, v13, v176
	s_wait_loadcnt 0x1
	v_mul_f32_e32 v161, v11, v5
	v_fma_f32 v23, v21, v163, -v20
	v_mul_f32_e32 v21, v15, v172
	v_fmac_f32_e32 v152, v143, v80
	v_lshl_add_u32 v163, v43, 2, 0
	s_wait_dscnt 0x1
	s_delay_alu instid0(VALU_DEP_3)
	v_dual_fmac_f32 v21, v61, v171 :: v_dual_mul_f32 v20, v60, v168
	v_mul_f32_e32 v16, v61, v172
	s_wait_dscnt 0x0
	v_dual_fmac_f32 v40, v60, v167 :: v_dual_mul_f32 v61, v66, v176
	v_dual_fmac_f32 v57, v66, v175 :: v_dual_mul_f32 v60, v24, v174
	v_fma_f32 v75, v14, v167, -v20
	v_mul_f32_e32 v20, v17, v170
	s_delay_alu instid0(VALU_DEP_4)
	v_fma_f32 v61, v13, v175, -v61
	v_fma_f32 v27, v15, v171, -v16
	v_fma_f32 v60, v146, v173, -v60
	v_mul_f32_e32 v14, v67, v170
	v_mul_f32_e32 v13, v12, v178
	v_fmac_f32_e32 v26, v64, v147
	v_dual_fmac_f32 v20, v67, v169 :: v_dual_mul_f32 v67, v65, v178
	s_delay_alu instid0(VALU_DEP_4)
	v_fma_f32 v25, v17, v169, -v14
	ds_load_2addr_b32 v[78:79], v120 offset0:77 offset1:202
	ds_load_b32 v148, v134
	ds_load_b32 v144, v135
	;; [unrolled: 1-line block ×5, first 2 shown]
	ds_load_b32 v64, v114 offset:14500
	ds_load_2addr_b32 v[14:15], v119 offset0:59 offset1:184
	v_fmac_f32_e32 v28, v56, v149
	v_dual_mul_f32 v56, v146, v174 :: v_dual_fmac_f32 v13, v65, v177
	v_add_nc_u32_e32 v147, 0x2a00, v114
	v_add_nc_u32_e32 v150, 0x1e00, v114
	s_delay_alu instid0(VALU_DEP_3)
	v_dual_fmac_f32 v56, v24, v173 :: v_dual_add_nc_u32 v143, 0x3600, v114
	v_fma_f32 v24, v12, v177, -v67
	v_mul_f32_e32 v12, v10, v180
	v_add_nc_u32_e32 v146, 0x2600, v114
	s_wait_dscnt 0x7
	v_dual_mul_f32 v66, v78, v180 :: v_dual_mul_f32 v67, v79, v5
	v_fmac_f32_e32 v161, v79, v4
	s_delay_alu instid0(VALU_DEP_2) | instskip(NEXT) | instid1(VALU_DEP_3)
	v_fma_f32 v5, v10, v179, -v66
	v_fma_f32 v10, v11, v4, -v67
	s_wait_dscnt 0x0
	v_mul_f32_e32 v65, v15, v7
	s_wait_loadcnt 0x0
	v_dual_mul_f32 v4, v9, v7 :: v_dual_mul_f32 v11, v14, v1
	v_mul_f32_e32 v1, v8, v1
	s_delay_alu instid0(VALU_DEP_3) | instskip(NEXT) | instid1(VALU_DEP_3)
	v_fma_f32 v7, v9, v6, -v65
	v_dual_mul_f32 v65, v64, v3 :: v_dual_fmac_f32 v4, v15, v6
	s_delay_alu instid0(VALU_DEP_4) | instskip(NEXT) | instid1(VALU_DEP_4)
	v_fma_f32 v6, v8, v0, -v11
	v_dual_fmac_f32 v1, v14, v0 :: v_dual_add_f32 v0, v61, v10
	s_delay_alu instid0(VALU_DEP_4) | instskip(SKIP_2) | instid1(VALU_DEP_4)
	v_dual_sub_f32 v11, v60, v61 :: v_dual_sub_f32 v14, v7, v10
	v_add_f32_e32 v15, v35, v60
	v_fma_f32 v8, v39, v2, -v65
	v_fma_f32 v65, -0.5, v0, v35
	v_mul_f32_e32 v0, v39, v3
	v_add_f32_e32 v3, v11, v14
	v_dual_add_f32 v14, v15, v61 :: v_dual_and_b32 v11, 0xffff, v62
	v_lshlrev_b32_e32 v62, 2, v63
	s_delay_alu instid0(VALU_DEP_4) | instskip(NEXT) | instid1(VALU_DEP_3)
	v_dual_fmac_f32 v0, v64, v2 :: v_dual_sub_f32 v39, v57, v161
	v_mul_u32_u24_e32 v11, 0x12c, v11
	s_delay_alu instid0(VALU_DEP_4)
	v_dual_add_f32 v14, v14, v10 :: v_dual_add_f32 v63, v60, v7
	ds_load_b32 v9, v114
	global_wb scope:SCOPE_SE
	s_wait_dscnt 0x0
	v_add3_u32 v11, 0, v11, v62
	v_add_f32_e32 v2, v14, v7
	v_sub_f32_e32 v14, v61, v60
	v_sub_f32_e32 v62, v10, v7
	v_fmac_f32_e32 v35, -0.5, v63
	s_barrier_signal -1
	s_barrier_wait -1
	global_inv scope:SCOPE_SE
	v_add_f32_e32 v14, v14, v62
	v_dual_sub_f32 v66, v56, v4 :: v_dual_fmamk_f32 v63, v39, 0xbf737871, v35
	v_dual_fmac_f32 v35, 0x3f737871, v39 :: v_dual_sub_f32 v62, v159, v160
	v_sub_f32_e32 v7, v60, v7
	s_delay_alu instid0(VALU_DEP_3) | instskip(NEXT) | instid1(VALU_DEP_4)
	v_fmamk_f32 v15, v66, 0x3f737871, v65
	v_fmac_f32_e32 v63, 0x3f167918, v66
	v_sub_f32_e32 v10, v61, v10
	v_add_nc_u32_e32 v149, 0x2200, v114
	s_delay_alu instid0(VALU_DEP_4) | instskip(NEXT) | instid1(VALU_DEP_4)
	v_fmac_f32_e32 v15, 0x3f167918, v39
	v_fmac_f32_e32 v63, 0x3e9e377a, v14
	;; [unrolled: 1-line block ×4, first 2 shown]
	s_delay_alu instid0(VALU_DEP_4) | instskip(NEXT) | instid1(VALU_DEP_3)
	v_fmac_f32_e32 v15, 0x3e9e377a, v3
	v_dual_fmac_f32 v12, v78, v179 :: v_dual_fmac_f32 v35, 0x3e9e377a, v14
	ds_store_2addr_b32 v11, v2, v15 offset1:15
	ds_store_2addr_b32 v11, v63, v35 offset0:30 offset1:45
	v_and_b32_e32 v2, 0xffff, v52
	v_lshlrev_b32_e32 v15, 2, v58
	v_dual_sub_f32 v58, v77, v158 :: v_dual_fmac_f32 v65, 0xbf167918, v39
	v_sub_f32_e32 v39, v160, v159
	s_delay_alu instid0(VALU_DEP_4) | instskip(SKIP_1) | instid1(VALU_DEP_4)
	v_mul_u32_u24_e32 v2, 0x12c, v2
	v_add_f32_e32 v35, v34, v158
	v_dual_add_f32 v58, v58, v62 :: v_dual_fmac_f32 v65, 0x3e9e377a, v3
	s_delay_alu instid0(VALU_DEP_3) | instskip(SKIP_3) | instid1(VALU_DEP_2)
	v_add3_u32 v15, 0, v2, v15
	v_sub_f32_e32 v2, v76, v156
	v_sub_f32_e32 v14, v158, v77
	v_add_f32_e32 v35, v35, v77
	v_add_f32_e32 v3, v14, v39
	v_dual_add_f32 v14, v77, v159 :: v_dual_add_f32 v39, v158, v160
	s_delay_alu instid0(VALU_DEP_3) | instskip(NEXT) | instid1(VALU_DEP_2)
	v_dual_sub_f32 v52, v74, v152 :: v_dual_add_f32 v35, v35, v159
	v_fma_f32 v14, -0.5, v14, v34
	s_delay_alu instid0(VALU_DEP_2) | instskip(NEXT) | instid1(VALU_DEP_2)
	v_dual_fmac_f32 v34, -0.5, v39 :: v_dual_add_f32 v35, v35, v160
	v_fmamk_f32 v39, v52, 0x3f737871, v14
	s_delay_alu instid0(VALU_DEP_2) | instskip(NEXT) | instid1(VALU_DEP_2)
	v_fmamk_f32 v63, v2, 0xbf737871, v34
	v_fmac_f32_e32 v39, 0x3f167918, v2
	s_delay_alu instid0(VALU_DEP_1) | instskip(NEXT) | instid1(VALU_DEP_3)
	v_fmac_f32_e32 v39, 0x3e9e377a, v3
	v_fmac_f32_e32 v63, 0x3f167918, v52
	s_delay_alu instid0(VALU_DEP_1) | instskip(SKIP_1) | instid1(VALU_DEP_1)
	v_fmac_f32_e32 v63, 0x3e9e377a, v58
	v_fmac_f32_e32 v34, 0x3f737871, v2
	;; [unrolled: 1-line block ×3, first 2 shown]
	s_delay_alu instid0(VALU_DEP_1)
	v_fmac_f32_e32 v34, 0x3e9e377a, v58
	ds_store_b32 v11, v65 offset:240
	ds_store_2addr_b32 v15, v35, v39 offset1:15
	ds_store_2addr_b32 v15, v63, v34 offset0:30 offset1:45
	v_add_f32_e32 v39, v33, v72
	v_fmac_f32_e32 v14, 0xbf737871, v52
	v_sub_f32_e32 v52, v157, v73
	v_lshlrev_b32_e32 v34, 2, v55
	v_mul_u32_u24_e32 v35, 0x12c, v50
	s_delay_alu instid0(VALU_DEP_4) | instskip(SKIP_1) | instid1(VALU_DEP_2)
	v_dual_add_f32 v39, v39, v47 :: v_dual_fmac_f32 v14, 0xbf167918, v2
	v_dual_sub_f32 v55, v47, v72 :: v_dual_sub_f32 v58, v73, v157
	v_dual_sub_f32 v2, v72, v47 :: v_dual_add_f32 v39, v39, v73
	s_delay_alu instid0(VALU_DEP_3) | instskip(SKIP_2) | instid1(VALU_DEP_4)
	v_dual_fmac_f32 v14, 0x3e9e377a, v3 :: v_dual_add_f32 v3, v47, v73
	v_add3_u32 v34, 0, v35, v34
	v_sub_f32_e32 v35, v37, v69
	v_add_f32_e32 v39, v39, v157
	v_add_f32_e32 v55, v55, v58
	v_fma_f32 v3, -0.5, v3, v33
	v_add_f32_e32 v50, v72, v157
	s_delay_alu instid0(VALU_DEP_1) | instskip(SKIP_1) | instid1(VALU_DEP_2)
	v_dual_fmac_f32 v33, -0.5, v50 :: v_dual_add_f32 v2, v2, v52
	v_sub_f32_e32 v52, v36, v71
	v_fmamk_f32 v62, v35, 0xbf737871, v33
	v_fmac_f32_e32 v33, 0x3f737871, v35
	s_delay_alu instid0(VALU_DEP_3) | instskip(SKIP_1) | instid1(VALU_DEP_2)
	v_fmamk_f32 v50, v52, 0x3f737871, v3
	v_fmac_f32_e32 v3, 0xbf737871, v52
	v_fmac_f32_e32 v50, 0x3f167918, v35
	s_delay_alu instid0(VALU_DEP_2) | instskip(SKIP_2) | instid1(VALU_DEP_4)
	v_fmac_f32_e32 v3, 0xbf167918, v35
	v_dual_sub_f32 v35, v70, v46 :: v_dual_fmac_f32 v62, 0x3f167918, v52
	v_fmac_f32_e32 v33, 0xbf167918, v52
	v_fmac_f32_e32 v50, 0x3e9e377a, v2
	s_delay_alu instid0(VALU_DEP_4) | instskip(NEXT) | instid1(VALU_DEP_4)
	v_dual_sub_f32 v52, v75, v68 :: v_dual_fmac_f32 v3, 0x3e9e377a, v2
	v_fmac_f32_e32 v62, 0x3e9e377a, v55
	s_delay_alu instid0(VALU_DEP_4)
	v_fmac_f32_e32 v33, 0x3e9e377a, v55
	v_sub_f32_e32 v55, v68, v75
	ds_store_b32 v15, v14 offset:240
	ds_store_2addr_b32 v34, v39, v50 offset1:15
	ds_store_2addr_b32 v34, v62, v33 offset0:30 offset1:45
	v_dual_add_f32 v39, v32, v70 :: v_dual_add_f32 v2, v35, v52
	v_lshlrev_b32_e32 v33, 2, v59
	v_mul_u32_u24_e32 v35, 0x12c, v54
	s_delay_alu instid0(VALU_DEP_3) | instskip(SKIP_2) | instid1(VALU_DEP_4)
	v_dual_sub_f32 v52, v26, v40 :: v_dual_add_f32 v39, v39, v46
	v_add_f32_e32 v50, v70, v75
	v_sub_f32_e32 v54, v46, v70
	v_add3_u32 v33, 0, v35, v33
	v_sub_f32_e32 v35, v28, v38
	v_add_f32_e32 v39, v39, v68
	v_add_f32_e32 v14, v46, v68
	;; [unrolled: 1-line block ×3, first 2 shown]
	s_delay_alu instid0(VALU_DEP_3) | instskip(NEXT) | instid1(VALU_DEP_3)
	v_add_f32_e32 v39, v39, v75
	v_fma_f32 v14, -0.5, v14, v32
	v_fmac_f32_e32 v32, -0.5, v50
	s_delay_alu instid0(VALU_DEP_2) | instskip(NEXT) | instid1(VALU_DEP_2)
	v_fmamk_f32 v50, v52, 0x3f737871, v14
	v_fmamk_f32 v58, v35, 0xbf737871, v32
	v_fmac_f32_e32 v32, 0x3f737871, v35
	v_fmac_f32_e32 v14, 0xbf737871, v52
	s_delay_alu instid0(VALU_DEP_4) | instskip(NEXT) | instid1(VALU_DEP_4)
	v_fmac_f32_e32 v50, 0x3f167918, v35
	v_fmac_f32_e32 v58, 0x3f167918, v52
	s_delay_alu instid0(VALU_DEP_4) | instskip(NEXT) | instid1(VALU_DEP_4)
	v_fmac_f32_e32 v32, 0xbf167918, v52
	v_fmac_f32_e32 v14, 0xbf167918, v35
	v_dual_sub_f32 v35, v22, v23 :: v_dual_sub_f32 v52, v27, v25
	v_fmac_f32_e32 v50, 0x3e9e377a, v2
	v_fmac_f32_e32 v58, 0x3e9e377a, v54
	;; [unrolled: 1-line block ×3, first 2 shown]
	ds_store_b32 v34, v3 offset:240
	ds_store_2addr_b32 v33, v39, v50 offset1:15
	ds_store_2addr_b32 v33, v58, v32 offset0:30 offset1:45
	v_dual_fmac_f32 v14, 0x3e9e377a, v2 :: v_dual_add_f32 v3, v35, v52
	v_sub_f32_e32 v52, v18, v21
	v_add_f32_e32 v2, v23, v25
	v_lshlrev_b32_e32 v32, 2, v53
	v_mul_u32_u24_e32 v35, 0x12c, v51
	v_dual_add_f32 v50, v22, v27 :: v_dual_add_f32 v39, v31, v22
	s_delay_alu instid0(VALU_DEP_4) | instskip(SKIP_1) | instid1(VALU_DEP_4)
	v_fma_f32 v51, -0.5, v2, v31
	v_sub_f32_e32 v53, v25, v27
	v_add3_u32 v2, 0, v35, v32
	s_delay_alu instid0(VALU_DEP_4) | instskip(SKIP_3) | instid1(VALU_DEP_4)
	v_dual_sub_f32 v32, v19, v20 :: v_dual_fmac_f32 v31, -0.5, v50
	v_add_f32_e32 v35, v39, v23
	v_fmamk_f32 v39, v52, 0x3f737871, v51
	v_dual_fmac_f32 v51, 0xbf737871, v52 :: v_dual_sub_f32 v50, v23, v22
	v_fmamk_f32 v54, v32, 0xbf737871, v31
	v_fmac_f32_e32 v31, 0x3f737871, v32
	v_add_f32_e32 v35, v35, v25
	v_fmac_f32_e32 v39, 0x3f167918, v32
	v_dual_fmac_f32 v51, 0xbf167918, v32 :: v_dual_add_f32 v50, v50, v53
	v_fmac_f32_e32 v54, 0x3f167918, v52
	v_fmac_f32_e32 v31, 0xbf167918, v52
	v_add_f32_e32 v35, v35, v27
	v_fmac_f32_e32 v39, 0x3e9e377a, v3
	v_fmac_f32_e32 v51, 0x3e9e377a, v3
	v_add_f32_e32 v3, v5, v6
	v_fmac_f32_e32 v54, 0x3e9e377a, v50
	v_fmac_f32_e32 v31, 0x3e9e377a, v50
	ds_store_b32 v33, v14 offset:240
	ds_store_2addr_b32 v2, v35, v39 offset1:15
	ds_store_2addr_b32 v2, v54, v31 offset0:30 offset1:45
	v_lshlrev_b32_e32 v31, 2, v49
	v_mul_u32_u24_e32 v35, 0x12c, v48
	v_fma_f32 v39, -0.5, v3, v30
	v_dual_sub_f32 v49, v13, v0 :: v_dual_sub_f32 v50, v8, v6
	v_add_f32_e32 v48, v24, v8
	s_delay_alu instid0(VALU_DEP_4) | instskip(SKIP_1) | instid1(VALU_DEP_4)
	v_add3_u32 v3, 0, v35, v31
	v_sub_f32_e32 v31, v12, v1
	v_fmamk_f32 v35, v49, 0x3f737871, v39
	v_fmac_f32_e32 v39, 0xbf737871, v49
	v_sub_f32_e32 v32, v24, v5
	ds_store_b32 v2, v51 offset:240
	v_fmac_f32_e32 v35, 0x3f167918, v31
	v_dual_fmac_f32 v39, 0xbf167918, v31 :: v_dual_add_f32 v14, v32, v50
	v_add_f32_e32 v32, v30, v24
	v_fmac_f32_e32 v30, -0.5, v48
	s_delay_alu instid0(VALU_DEP_1) | instskip(SKIP_2) | instid1(VALU_DEP_3)
	v_fmamk_f32 v51, v31, 0xbf737871, v30
	v_dual_fmac_f32 v30, 0x3f737871, v31 :: v_dual_add_f32 v31, v9, v56
	v_dual_sub_f32 v48, v5, v24 :: v_dual_fmac_f32 v39, 0x3e9e377a, v14
	v_fmac_f32_e32 v51, 0x3f167918, v49
	s_delay_alu instid0(VALU_DEP_3) | instskip(SKIP_3) | instid1(VALU_DEP_3)
	v_fmac_f32_e32 v30, 0xbf167918, v49
	v_add_f32_e32 v49, v57, v161
	v_add_f32_e32 v31, v31, v57
	v_fmac_f32_e32 v35, 0x3e9e377a, v14
	v_fma_f32 v166, -0.5, v49, v9
	v_add_f32_e32 v32, v32, v5
	v_sub_f32_e32 v49, v56, v57
	v_add_f32_e32 v31, v31, v161
	v_sub_f32_e32 v5, v5, v6
	v_dual_fmamk_f32 v167, v7, 0xbf737871, v166 :: v_dual_sub_f32 v50, v6, v8
	v_add_f32_e32 v32, v32, v6
	v_fmac_f32_e32 v166, 0x3f737871, v7
	s_delay_alu instid0(VALU_DEP_3) | instskip(NEXT) | instid1(VALU_DEP_4)
	v_dual_add_f32 v6, v12, v1 :: v_dual_fmac_f32 v167, 0xbf167918, v10
	v_add_f32_e32 v48, v48, v50
	v_sub_f32_e32 v50, v4, v161
	s_delay_alu instid0(VALU_DEP_3) | instskip(NEXT) | instid1(VALU_DEP_2)
	v_fma_f32 v6, -0.5, v6, v16
	v_dual_fmac_f32 v51, 0x3e9e377a, v48 :: v_dual_add_f32 v14, v49, v50
	v_add_f32_e32 v32, v32, v8
	s_delay_alu instid0(VALU_DEP_2)
	v_dual_fmac_f32 v30, 0x3e9e377a, v48 :: v_dual_fmac_f32 v167, 0x3e9e377a, v14
	ds_store_2addr_b32 v3, v32, v35 offset1:15
	ds_store_2addr_b32 v3, v51, v30 offset0:30 offset1:45
	ds_store_b32 v3, v39 offset:240
	v_add_f32_e32 v30, v31, v4
	v_add_f32_e32 v31, v56, v4
	v_sub_f32_e32 v4, v161, v4
	global_wb scope:SCOPE_SE
	s_wait_dscnt 0x0
	s_barrier_signal -1
	s_barrier_wait -1
	v_fmac_f32_e32 v9, -0.5, v31
	v_sub_f32_e32 v31, v57, v56
	v_add_nc_u32_e32 v145, 0x2e00, v114
	global_inv scope:SCOPE_SE
	ds_load_b32 v141, v114
	ds_load_b32 v153, v133
	;; [unrolled: 1-line block ×3, first 2 shown]
	v_fmamk_f32 v32, v10, 0x3f737871, v9
	v_dual_fmac_f32 v9, 0xbf737871, v10 :: v_dual_add_f32 v4, v31, v4
	v_sub_f32_e32 v31, v77, v159
	s_delay_alu instid0(VALU_DEP_3) | instskip(NEXT) | instid1(VALU_DEP_3)
	v_fmac_f32_e32 v32, 0xbf167918, v7
	v_dual_fmac_f32 v9, 0x3f167918, v7 :: v_dual_fmac_f32 v166, 0x3f167918, v10
	v_sub_f32_e32 v7, v158, v160
	ds_load_b32 v154, v163
	ds_load_b32 v155, v136
	ds_load_b32 v139, v135
	ds_load_2addr_b32 v[64:65], v165 offset0:92 offset1:217
	ds_load_2addr_b32 v[60:61], v151 offset0:86 offset1:211
	;; [unrolled: 1-line block ×4, first 2 shown]
	v_fmac_f32_e32 v32, 0x3e9e377a, v4
	v_fmac_f32_e32 v9, 0x3e9e377a, v4
	ds_load_2addr_b32 v[54:55], v145 offset0:56 offset1:181
	ds_load_2addr_b32 v[48:49], v142 offset0:50 offset1:175
	;; [unrolled: 1-line block ×6, first 2 shown]
	v_add_f32_e32 v4, v76, v156
	v_fmac_f32_e32 v166, 0x3e9e377a, v14
	v_sub_f32_e32 v14, v152, v156
	ds_load_2addr_b32 v[56:57], v147 offset0:62 offset1:187
	ds_load_2addr_b32 v[50:51], v143 offset0:44 offset1:169
	global_wb scope:SCOPE_SE
	s_wait_dscnt 0x0
	s_barrier_signal -1
	s_barrier_wait -1
	global_inv scope:SCOPE_SE
	ds_store_2addr_b32 v11, v30, v167 offset1:15
	ds_store_2addr_b32 v11, v32, v9 offset0:30 offset1:45
	v_add_f32_e32 v30, v74, v152
	v_add_f32_e32 v10, v148, v74
	v_fma_f32 v4, -0.5, v4, v148
	s_delay_alu instid0(VALU_DEP_3) | instskip(SKIP_1) | instid1(VALU_DEP_2)
	v_dual_sub_f32 v9, v74, v76 :: v_dual_fmac_f32 v148, -0.5, v30
	v_sub_f32_e32 v30, v156, v152
	v_dual_fmamk_f32 v32, v7, 0xbf737871, v4 :: v_dual_add_f32 v9, v9, v14
	s_delay_alu instid0(VALU_DEP_3) | instskip(SKIP_1) | instid1(VALU_DEP_3)
	v_dual_sub_f32 v14, v76, v74 :: v_dual_fmamk_f32 v35, v31, 0x3f737871, v148
	v_add_f32_e32 v10, v10, v76
	v_fmac_f32_e32 v32, 0xbf167918, v31
	v_fmac_f32_e32 v148, 0xbf737871, v31
	s_delay_alu instid0(VALU_DEP_4) | instskip(NEXT) | instid1(VALU_DEP_4)
	v_dual_add_f32 v14, v14, v30 :: v_dual_fmac_f32 v35, 0xbf167918, v7
	v_add_f32_e32 v10, v10, v156
	s_delay_alu instid0(VALU_DEP_4) | instskip(NEXT) | instid1(VALU_DEP_4)
	v_fmac_f32_e32 v32, 0x3e9e377a, v9
	v_fmac_f32_e32 v148, 0x3f167918, v7
	;; [unrolled: 1-line block ×3, first 2 shown]
	v_add_f32_e32 v30, v36, v71
	v_add_f32_e32 v10, v10, v152
	ds_store_b32 v11, v166 offset:240
	ds_store_2addr_b32 v15, v10, v32 offset1:15
	v_dual_add_f32 v10, v37, v69 :: v_dual_fmac_f32 v35, 0x3e9e377a, v14
	v_fmac_f32_e32 v148, 0x3e9e377a, v14
	v_dual_fmac_f32 v4, 0x3f167918, v31 :: v_dual_sub_f32 v7, v72, v157
	v_sub_f32_e32 v11, v36, v37
	v_dual_sub_f32 v14, v71, v69 :: v_dual_add_f32 v31, v144, v36
	v_fma_f32 v10, -0.5, v10, v144
	v_sub_f32_e32 v32, v47, v73
	v_fmac_f32_e32 v144, -0.5, v30
	s_delay_alu instid0(VALU_DEP_4) | instskip(SKIP_2) | instid1(VALU_DEP_4)
	v_add_f32_e32 v11, v11, v14
	v_add_f32_e32 v14, v31, v37
	v_dual_fmamk_f32 v30, v7, 0xbf737871, v10 :: v_dual_sub_f32 v31, v37, v36
	v_dual_sub_f32 v36, v69, v71 :: v_dual_fmamk_f32 v37, v32, 0x3f737871, v144
	v_fmac_f32_e32 v144, 0xbf737871, v32
	s_delay_alu instid0(VALU_DEP_4) | instskip(NEXT) | instid1(VALU_DEP_4)
	v_add_f32_e32 v14, v14, v69
	v_fmac_f32_e32 v30, 0xbf167918, v32
	s_delay_alu instid0(VALU_DEP_4)
	v_add_f32_e32 v31, v31, v36
	v_fmac_f32_e32 v37, 0xbf167918, v7
	v_fmac_f32_e32 v144, 0x3f167918, v7
	v_dual_fmac_f32 v10, 0x3f737871, v7 :: v_dual_add_f32 v7, v28, v38
	v_dual_fmac_f32 v4, 0x3e9e377a, v9 :: v_dual_add_f32 v9, v14, v71
	v_fmac_f32_e32 v30, 0x3e9e377a, v11
	v_fmac_f32_e32 v37, 0x3e9e377a, v31
	;; [unrolled: 1-line block ×3, first 2 shown]
	ds_store_2addr_b32 v15, v35, v148 offset0:30 offset1:45
	ds_store_b32 v15, v4 offset:240
	ds_store_2addr_b32 v34, v9, v30 offset1:15
	ds_store_2addr_b32 v34, v37, v144 offset0:30 offset1:45
	v_sub_f32_e32 v4, v70, v75
	v_dual_sub_f32 v9, v26, v28 :: v_dual_sub_f32 v14, v40, v38
	v_dual_add_f32 v15, v26, v40 :: v_dual_add_f32 v30, v29, v26
	v_fma_f32 v7, -0.5, v7, v29
	v_sub_f32_e32 v31, v46, v68
	s_delay_alu instid0(VALU_DEP_4) | instskip(NEXT) | instid1(VALU_DEP_4)
	v_add_f32_e32 v9, v9, v14
	v_dual_fmac_f32 v29, -0.5, v15 :: v_dual_add_f32 v14, v30, v28
	s_delay_alu instid0(VALU_DEP_4) | instskip(SKIP_2) | instid1(VALU_DEP_4)
	v_fmamk_f32 v15, v4, 0xbf737871, v7
	v_fmac_f32_e32 v7, 0x3f737871, v4
	v_fmac_f32_e32 v10, 0x3f167918, v32
	v_fmamk_f32 v30, v31, 0x3f737871, v29
	v_dual_fmac_f32 v29, 0xbf737871, v31 :: v_dual_add_f32 v14, v14, v38
	v_fmac_f32_e32 v15, 0xbf167918, v31
	s_delay_alu instid0(VALU_DEP_4) | instskip(NEXT) | instid1(VALU_DEP_4)
	v_fmac_f32_e32 v10, 0x3e9e377a, v11
	v_fmac_f32_e32 v30, 0xbf167918, v4
	s_delay_alu instid0(VALU_DEP_4)
	v_fmac_f32_e32 v29, 0x3f167918, v4
	v_add_f32_e32 v11, v14, v40
	v_dual_fmac_f32 v15, 0x3e9e377a, v9 :: v_dual_add_f32 v4, v19, v20
	ds_store_b32 v34, v10 offset:240
	v_dual_sub_f32 v14, v23, v25 :: v_dual_mov_b32 v47, 0
	ds_store_2addr_b32 v33, v11, v15 offset1:15
	v_sub_f32_e32 v11, v22, v27
	v_fma_f32 v4, -0.5, v4, v17
	v_dual_add_f32 v25, v18, v21 :: v_dual_add_f32 v10, v17, v18
	v_fmac_f32_e32 v7, 0x3f167918, v31
	v_dual_sub_f32 v15, v18, v19 :: v_dual_sub_f32 v22, v21, v20
	s_delay_alu instid0(VALU_DEP_4) | instskip(NEXT) | instid1(VALU_DEP_4)
	v_fmamk_f32 v23, v11, 0xbf737871, v4
	v_dual_fmac_f32 v17, -0.5, v25 :: v_dual_fmac_f32 v4, 0x3f737871, v11
	s_delay_alu instid0(VALU_DEP_4) | instskip(NEXT) | instid1(VALU_DEP_4)
	v_dual_add_f32 v10, v10, v19 :: v_dual_fmac_f32 v7, 0x3e9e377a, v9
	v_add_f32_e32 v9, v15, v22
	s_delay_alu instid0(VALU_DEP_4)
	v_fmac_f32_e32 v23, 0xbf167918, v14
	v_dual_sub_f32 v15, v19, v18 :: v_dual_sub_f32 v18, v20, v21
	v_fmamk_f32 v19, v14, 0x3f737871, v17
	v_fmac_f32_e32 v17, 0xbf737871, v14
	v_fmac_f32_e32 v4, 0x3f167918, v14
	v_dual_sub_f32 v26, v28, v26 :: v_dual_fmac_f32 v23, 0x3e9e377a, v9
	s_delay_alu instid0(VALU_DEP_3) | instskip(SKIP_1) | instid1(VALU_DEP_4)
	v_dual_add_f32 v14, v15, v18 :: v_dual_fmac_f32 v17, 0x3f167918, v11
	v_sub_f32_e32 v28, v38, v40
	v_fmac_f32_e32 v4, 0x3e9e377a, v9
	v_add_f32_e32 v9, v16, v13
	v_fmac_f32_e32 v19, 0xbf167918, v11
	v_fmac_f32_e32 v17, 0x3e9e377a, v14
	v_add_f32_e32 v11, v13, v0
	v_add_f32_e32 v10, v10, v20
	;; [unrolled: 1-line block ×3, first 2 shown]
	v_dual_add_f32 v26, v26, v28 :: v_dual_fmac_f32 v19, 0x3e9e377a, v14
	s_delay_alu instid0(VALU_DEP_4) | instskip(NEXT) | instid1(VALU_DEP_2)
	v_dual_fmac_f32 v16, -0.5, v11 :: v_dual_sub_f32 v11, v12, v13
	v_dual_add_f32 v9, v9, v1 :: v_dual_fmac_f32 v30, 0x3e9e377a, v26
	v_dual_fmac_f32 v29, 0x3e9e377a, v26 :: v_dual_add_f32 v10, v10, v21
	v_mul_u32_u24_e32 v14, 0xb4e9, v42
	s_delay_alu instid0(VALU_DEP_3)
	v_add_f32_e32 v9, v9, v0
	ds_store_2addr_b32 v33, v30, v29 offset0:30 offset1:45
	ds_store_b32 v33, v7 offset:240
	ds_store_2addr_b32 v2, v10, v23 offset1:15
	v_sub_f32_e32 v7, v24, v8
	v_sub_f32_e32 v8, v13, v12
	;; [unrolled: 1-line block ×3, first 2 shown]
	v_mul_lo_u16 v13, 0xdb, v41
	v_sub_f32_e32 v0, v1, v0
	v_fmamk_f32 v12, v7, 0xbf737871, v6
	v_fmac_f32_e32 v6, 0x3f737871, v7
	v_add_f32_e32 v8, v8, v10
	v_lshrrev_b32_e32 v10, 16, v14
	v_lshrrev_b16 v158, 14, v13
	v_add_f32_e32 v0, v11, v0
	v_fmac_f32_e32 v12, 0xbf167918, v5
	v_fmac_f32_e32 v6, 0x3f167918, v5
	v_sub_nc_u16 v14, v106, v10
	v_mul_lo_u16 v1, 0x4b, v158
	ds_store_2addr_b32 v2, v19, v17 offset0:30 offset1:45
	v_fmac_f32_e32 v12, 0x3e9e377a, v8
	v_fmac_f32_e32 v6, 0x3e9e377a, v8
	v_lshrrev_b16 v13, 1, v14
	v_sub_nc_u16 v1, v104, v1
	s_delay_alu instid0(VALU_DEP_2) | instskip(SKIP_2) | instid1(VALU_DEP_4)
	v_add_nc_u16 v10, v13, v10
	v_fmamk_f32 v13, v5, 0x3f737871, v16
	v_fmac_f32_e32 v16, 0xbf737871, v5
	v_and_b32_e32 v159, 0xff, v1
	s_delay_alu instid0(VALU_DEP_4) | instskip(NEXT) | instid1(VALU_DEP_4)
	v_lshrrev_b16 v156, 6, v10
	v_fmac_f32_e32 v13, 0xbf167918, v7
	s_delay_alu instid0(VALU_DEP_4) | instskip(NEXT) | instid1(VALU_DEP_3)
	v_fmac_f32_e32 v16, 0x3f167918, v7
	v_mul_lo_u16 v1, 0x4b, v156
	s_delay_alu instid0(VALU_DEP_3) | instskip(NEXT) | instid1(VALU_DEP_3)
	v_fmac_f32_e32 v13, 0x3e9e377a, v0
	v_fmac_f32_e32 v16, 0x3e9e377a, v0
	v_mul_u32_u24_e32 v0, 9, v159
	ds_store_b32 v2, v4 offset:240
	ds_store_2addr_b32 v3, v9, v12 offset1:15
	ds_store_2addr_b32 v3, v13, v16 offset0:30 offset1:45
	ds_store_b32 v3, v6 offset:240
	v_sub_nc_u16 v1, v106, v1
	global_wb scope:SCOPE_SE
	s_wait_dscnt 0x0
	v_lshlrev_b32_e32 v70, 3, v0
	v_add_nc_u32_e32 v0, 0xffffffb5, v101
	s_barrier_signal -1
	v_and_b32_e32 v157, 0xffff, v1
	s_barrier_wait -1
	global_inv scope:SCOPE_SE
	global_load_b128 v[166:169], v70, s[4:5] offset:576
	s_wait_alu 0xf1ff
	v_cndmask_b32_e64 v160, v0, v101, s0
	v_mul_u32_u24_e32 v1, 9, v157
	s_delay_alu instid0(VALU_DEP_2) | instskip(NEXT) | instid1(VALU_DEP_2)
	v_mul_i32_i24_e32 v46, 9, v160
	v_lshlrev_b32_e32 v72, 3, v1
	s_delay_alu instid0(VALU_DEP_2)
	v_lshlrev_b64_e32 v[0:1], 3, v[46:47]
	global_load_b128 v[4:7], v72, s[4:5] offset:576
	v_add_co_u32 v68, s0, s4, v0
	s_wait_alu 0xf1ff
	v_add_co_ci_u32_e64 v69, s0, s5, v1, s0
	s_clause 0xc
	global_load_b128 v[0:3], v[68:69], off offset:576
	global_load_b128 v[8:11], v[68:69], off offset:592
	global_load_b128 v[12:15], v70, s[4:5] offset:592
	global_load_b128 v[16:19], v72, s[4:5] offset:592
	global_load_b128 v[20:23], v[68:69], off offset:608
	global_load_b128 v[24:27], v70, s[4:5] offset:608
	global_load_b128 v[28:31], v72, s[4:5] offset:608
	global_load_b128 v[32:35], v[68:69], off offset:624
	global_load_b128 v[36:39], v70, s[4:5] offset:624
	global_load_b128 v[40:43], v72, s[4:5] offset:624
	global_load_b64 v[68:69], v[68:69], off offset:640
	global_load_b64 v[70:71], v70, s[4:5] offset:640
	global_load_b64 v[72:73], v72, s[4:5] offset:640
	ds_load_2addr_b32 v[170:171], v162 offset0:116 offset1:241
	ds_load_2addr_b32 v[76:77], v117 offset0:107 offset1:232
	ds_load_b32 v162, v136
	ds_load_b32 v163, v163
	;; [unrolled: 1-line block ×3, first 2 shown]
	v_cmp_lt_u32_e64 s0, 0x4a, v101
	s_wait_loadcnt_dscnt 0xe03
	v_mul_f32_e32 v74, v76, v169
	v_mul_f32_e32 v46, v170, v167
	;; [unrolled: 1-line block ×4, first 2 shown]
	s_delay_alu instid0(VALU_DEP_4)
	v_fma_f32 v152, v78, v168, -v74
	ds_load_2addr_b32 v[74:75], v165 offset0:92 offset1:217
	v_fma_f32 v80, v80, v166, -v46
	v_fmac_f32_e32 v144, v170, v166
	v_fmac_f32_e32 v148, v76, v168
	s_wait_loadcnt 0xd
	v_mul_f32_e32 v46, v171, v5
	v_mul_f32_e32 v78, v81, v5
	;; [unrolled: 1-line block ×4, first 2 shown]
	ds_load_b32 v7, v135
	s_wait_loadcnt_dscnt 0xc02
	v_dual_mul_f32 v165, v162, v1 :: v_dual_mul_f32 v166, v161, v3
	v_fma_f32 v46, v81, v4, -v46
	v_fma_f32 v79, v79, v6, -v5
	v_dual_mul_f32 v81, v155, v1 :: v_dual_fmac_f32 v76, v77, v6
	s_delay_alu instid0(VALU_DEP_4)
	v_fma_f32 v77, v155, v0, -v165
	v_mul_f32_e32 v155, v153, v3
	v_fma_f32 v153, v153, v2, -v166
	v_fmac_f32_e32 v78, v171, v4
	ds_load_2addr_b32 v[4:5], v164 offset0:98 offset1:223
	ds_load_b32 v1, v134
	ds_load_b32 v164, v114
	s_wait_loadcnt_dscnt 0xb04
	v_mul_f32_e32 v3, v74, v11
	ds_load_2addr_b32 v[165:166], v151 offset0:86 offset1:211
	v_fmac_f32_e32 v81, v162, v0
	v_dual_mul_f32 v162, v154, v9 :: v_dual_mul_f32 v151, v64, v11
	v_fma_f32 v64, v64, v10, -v3
	v_dual_mul_f32 v0, v163, v9 :: v_dual_fmac_f32 v155, v161, v2
	s_delay_alu instid0(VALU_DEP_3)
	v_fmac_f32_e32 v162, v163, v8
	s_wait_loadcnt 0x9
	v_mul_f32_e32 v163, v67, v17
	v_fmac_f32_e32 v151, v74, v10
	v_fma_f32 v154, v154, v8, -v0
	v_mul_f32_e32 v0, v75, v15
	ds_load_2addr_b32 v[8:9], v149 offset0:74 offset1:199
	v_dual_mul_f32 v10, v65, v15 :: v_dual_mul_f32 v149, v66, v13
	s_wait_dscnt 0x4
	v_mul_f32_e32 v2, v4, v13
	v_fma_f32 v11, v65, v14, -v0
	v_mul_f32_e32 v0, v5, v17
	v_fmac_f32_e32 v163, v5, v16
	ds_load_2addr_b32 v[5:6], v146 offset0:68 offset1:193
	v_fma_f32 v161, v66, v12, -v2
	ds_load_2addr_b32 v[65:66], v150 offset0:80 offset1:205
	v_fma_f32 v67, v67, v16, -v0
	s_wait_loadcnt_dscnt 0x803
	v_mul_f32_e32 v3, v166, v21
	s_wait_loadcnt 0x7
	v_dual_mul_f32 v16, v61, v21 :: v_dual_mul_f32 v13, v59, v27
	v_dual_fmac_f32 v149, v4, v12 :: v_dual_mul_f32 v2, v165, v19
	s_delay_alu instid0(VALU_DEP_3) | instskip(NEXT) | instid1(VALU_DEP_3)
	v_fma_f32 v150, v61, v20, -v3
	v_fmac_f32_e32 v16, v166, v20
	ds_load_2addr_b32 v[20:21], v147 offset0:62 offset1:187
	s_wait_dscnt 0x3
	v_mul_f32_e32 v3, v8, v23
	v_mul_f32_e32 v61, v58, v23
	v_mul_f32_e32 v0, v60, v19
	v_mul_f32_e32 v4, v9, v27
	v_fmac_f32_e32 v13, v9, v26
	v_fma_f32 v17, v58, v22, -v3
	v_fmac_f32_e32 v61, v8, v22
	s_wait_loadcnt 0x6
	v_mul_f32_e32 v3, v63, v29
	s_wait_loadcnt_dscnt 0x502
	v_mul_f32_e32 v9, v6, v33
	v_fma_f32 v2, v60, v18, -v2
	s_wait_dscnt 0x1
	v_mul_f32_e32 v8, v66, v29
	v_dual_fmac_f32 v0, v165, v18 :: v_dual_fmac_f32 v3, v66, v28
	v_mul_f32_e32 v18, v53, v33
	s_wait_loadcnt 0x4
	v_mul_f32_e32 v58, v56, v37
	v_fma_f32 v27, v63, v28, -v8
	v_fma_f32 v28, v53, v32, -v9
	ds_load_2addr_b32 v[22:23], v142 offset0:50 offset1:175
	v_fmac_f32_e32 v18, v6, v32
	s_wait_dscnt 0x1
	v_mul_f32_e32 v6, v20, v37
	v_fma_f32 v15, v59, v26, -v4
	v_dual_sub_f32 v37, v150, v28 :: v_dual_fmac_f32 v10, v75, v14
	ds_load_2addr_b32 v[74:75], v145 offset0:56 offset1:181
	v_mul_f32_e32 v4, v65, v25
	v_mul_f32_e32 v8, v5, v31
	v_fmac_f32_e32 v58, v20, v36
	v_fma_f32 v29, v56, v36, -v6
	s_wait_loadcnt 0x3
	v_mul_f32_e32 v6, v21, v41
	v_fma_f32 v26, v62, v24, -v4
	v_mul_f32_e32 v4, v52, v31
	s_wait_alu 0xf1ff
	v_cndmask_b32_e64 v36, 0, 0xbb8, s0
	v_mul_f32_e32 v9, v48, v43
	v_mul_f32_e32 v59, v55, v39
	v_fma_f32 v8, v52, v30, -v8
	v_fmac_f32_e32 v4, v5, v30
	v_fma_f32 v30, v57, v40, -v6
	s_wait_loadcnt_dscnt 0x201
	v_dual_mul_f32 v20, v23, v69 :: v_dual_fmac_f32 v9, v22, v42
	s_wait_loadcnt 0x0
	v_mul_f32_e32 v6, v51, v73
	v_sub_f32_e32 v52, v151, v61
	s_wait_dscnt 0x0
	v_mul_f32_e32 v5, v75, v39
	v_add_f32_e32 v39, v77, v154
	v_fmac_f32_e32 v59, v75, v38
	s_delay_alu instid0(VALU_DEP_3)
	v_fma_f32 v60, v55, v38, -v5
	v_mul_f32_e32 v5, v57, v41
	v_sub_f32_e32 v41, v16, v18
	v_sub_f32_e32 v33, v162, v16
	v_add_f32_e32 v39, v39, v150
	v_add_f32_e32 v63, v81, v162
	v_fmac_f32_e32 v5, v21, v40
	v_fma_f32 v21, v49, v68, -v20
	v_mul_f32_e32 v12, v74, v35
	v_dual_mul_f32 v20, v49, v69 :: v_dual_add_f32 v39, v39, v28
	s_delay_alu instid0(VALU_DEP_3) | instskip(NEXT) | instid1(VALU_DEP_3)
	v_add_f32_e32 v56, v154, v21
	v_fma_f32 v19, v54, v34, -v12
	v_mul_f32_e32 v14, v62, v25
	v_dual_mul_f32 v62, v54, v35 :: v_dual_lshlrev_b32 v35, 2, v160
	v_mul_f32_e32 v12, v22, v43
	v_fmac_f32_e32 v20, v23, v68
	v_dual_sub_f32 v32, v21, v28 :: v_dual_add_f32 v39, v39, v21
	s_delay_alu instid0(VALU_DEP_4) | instskip(SKIP_3) | instid1(VALU_DEP_4)
	v_add3_u32 v43, 0, v36, v35
	v_add_f32_e32 v35, v150, v28
	v_fma_f32 v12, v48, v42, -v12
	v_mul_f32_e32 v42, v50, v71
	v_add_nc_u32_e32 v68, 0x800, v43
	s_delay_alu instid0(VALU_DEP_4) | instskip(SKIP_3) | instid1(VALU_DEP_3)
	v_fma_f32 v48, -0.5, v35, v77
	v_dual_fmac_f32 v77, -0.5, v56 :: v_dual_fmac_f32 v62, v74, v34
	v_sub_f32_e32 v34, v20, v18
	v_sub_f32_e32 v56, v150, v154
	;; [unrolled: 1-line block ×3, first 2 shown]
	v_fmac_f32_e32 v14, v65, v24
	ds_load_2addr_b32 v[24:25], v143 offset0:44 offset1:169
	global_wb scope:SCOPE_SE
	s_wait_dscnt 0x0
	s_barrier_signal -1
	s_barrier_wait -1
	global_inv scope:SCOPE_SE
	v_dual_mul_f32 v31, v25, v73 :: v_dual_mul_f32 v22, v24, v71
	v_fmac_f32_e32 v42, v24, v70
	v_fmac_f32_e32 v6, v25, v72
	v_sub_f32_e32 v24, v153, v64
	s_delay_alu instid0(VALU_DEP_4) | instskip(SKIP_4) | instid1(VALU_DEP_3)
	v_fma_f32 v23, v51, v72, -v31
	v_sub_f32_e32 v25, v19, v17
	v_sub_f32_e32 v31, v154, v150
	v_add_f32_e32 v51, v153, v19
	v_add_f32_e32 v75, v144, v149
	v_dual_add_f32 v24, v24, v25 :: v_dual_add_f32 v25, v31, v32
	v_add_f32_e32 v31, v33, v34
	v_add_f32_e32 v33, v141, v153
	s_delay_alu instid0(VALU_DEP_1) | instskip(NEXT) | instid1(VALU_DEP_1)
	v_add_f32_e32 v33, v33, v64
	v_add_f32_e32 v33, v33, v17
	s_delay_alu instid0(VALU_DEP_1) | instskip(NEXT) | instid1(VALU_DEP_1)
	v_dual_add_f32 v33, v33, v19 :: v_dual_add_f32 v34, v64, v17
	v_add_f32_e32 v57, v33, v39
	v_sub_f32_e32 v33, v33, v39
	s_delay_alu instid0(VALU_DEP_3) | instskip(SKIP_2) | instid1(VALU_DEP_2)
	v_fma_f32 v34, -0.5, v34, v141
	v_fmac_f32_e32 v141, -0.5, v51
	v_sub_f32_e32 v51, v64, v153
	v_fmamk_f32 v55, v52, 0xbf737871, v141
	v_fmac_f32_e32 v141, 0x3f737871, v52
	s_delay_alu instid0(VALU_DEP_2) | instskip(NEXT) | instid1(VALU_DEP_1)
	v_dual_fmac_f32 v55, 0x3f167918, v38 :: v_dual_sub_f32 v54, v17, v19
	v_dual_add_f32 v54, v51, v54 :: v_dual_fmamk_f32 v51, v41, 0xbf737871, v77
	v_fmac_f32_e32 v77, 0x3f737871, v41
	s_delay_alu instid0(VALU_DEP_2) | instskip(SKIP_1) | instid1(VALU_DEP_1)
	v_fmac_f32_e32 v55, 0x3e9e377a, v54
	v_add_f32_e32 v32, v16, v18
	v_fma_f32 v49, -0.5, v32, v81
	v_sub_f32_e32 v32, v154, v21
	v_sub_f32_e32 v21, v28, v21
	s_delay_alu instid0(VALU_DEP_2) | instskip(SKIP_1) | instid1(VALU_DEP_3)
	v_fmamk_f32 v36, v32, 0xbf737871, v49
	v_fmac_f32_e32 v49, 0x3f737871, v32
	v_add_f32_e32 v21, v56, v21
	s_delay_alu instid0(VALU_DEP_2) | instskip(SKIP_2) | instid1(VALU_DEP_3)
	v_dual_fmac_f32 v49, 0x3f167918, v37 :: v_dual_add_f32 v28, v162, v20
	v_sub_f32_e32 v35, v162, v20
	v_sub_f32_e32 v65, v18, v20
	v_fmac_f32_e32 v49, 0x3e9e377a, v31
	s_delay_alu instid0(VALU_DEP_4) | instskip(NEXT) | instid1(VALU_DEP_4)
	v_dual_fmac_f32 v81, -0.5, v28 :: v_dual_sub_f32 v28, v16, v162
	v_fmamk_f32 v40, v35, 0x3f737871, v48
	v_fmac_f32_e32 v51, 0x3f167918, v35
	v_fmac_f32_e32 v48, 0xbf737871, v35
	s_delay_alu instid0(VALU_DEP_4) | instskip(SKIP_4) | instid1(VALU_DEP_4)
	v_fmamk_f32 v56, v37, 0x3f737871, v81
	v_fmac_f32_e32 v81, 0xbf737871, v37
	v_dual_add_f32 v28, v28, v65 :: v_dual_add_nc_u32 v65, 0x400, v43
	v_fmac_f32_e32 v51, 0x3e9e377a, v21
	v_fma_f32 v22, v50, v70, -v22
	v_fmac_f32_e32 v81, 0x3f167918, v32
	v_dual_fmac_f32 v48, 0xbf167918, v41 :: v_dual_fmac_f32 v77, 0xbf167918, v35
	s_delay_alu instid0(VALU_DEP_3) | instskip(NEXT) | instid1(VALU_DEP_3)
	v_dual_add_f32 v16, v63, v16 :: v_dual_add_f32 v73, v161, v22
	v_fmac_f32_e32 v81, 0x3e9e377a, v28
	v_fmac_f32_e32 v40, 0x3f167918, v41
	v_dual_sub_f32 v41, v10, v13 :: v_dual_fmac_f32 v56, 0xbf167918, v32
	v_fmac_f32_e32 v77, 0x3e9e377a, v21
	v_fmac_f32_e32 v48, 0x3e9e377a, v25
	s_delay_alu instid0(VALU_DEP_4) | instskip(SKIP_1) | instid1(VALU_DEP_4)
	v_fmac_f32_e32 v40, 0x3e9e377a, v25
	v_add_nc_u32_e32 v66, 0x600, v43
	v_dual_fmac_f32 v56, 0x3e9e377a, v28 :: v_dual_mul_f32 v25, 0x3e9e377a, v77
	s_delay_alu instid0(VALU_DEP_4) | instskip(SKIP_1) | instid1(VALU_DEP_3)
	v_dual_mul_f32 v28, 0x3f4f1bbd, v48 :: v_dual_sub_f32 v63, v153, v19
	v_add_f32_e32 v19, v164, v155
	v_mul_f32_e32 v21, 0x3f737871, v56
	s_delay_alu instid0(VALU_DEP_4) | instskip(SKIP_1) | instid1(VALU_DEP_3)
	v_fma_f32 v25, 0x3f737871, v81, -v25
	v_mul_f32_e32 v81, 0x3e9e377a, v81
	v_fmac_f32_e32 v21, 0x3e9e377a, v51
	v_fmamk_f32 v50, v38, 0x3f737871, v34
	v_dual_fmac_f32 v34, 0xbf737871, v38 :: v_dual_mul_f32 v51, 0xbf737871, v51
	v_add_f32_e32 v16, v16, v18
	s_delay_alu instid0(VALU_DEP_3) | instskip(NEXT) | instid1(VALU_DEP_3)
	v_fmac_f32_e32 v50, 0x3f167918, v52
	v_fmac_f32_e32 v34, 0xbf167918, v52
	s_delay_alu instid0(VALU_DEP_3) | instskip(NEXT) | instid1(VALU_DEP_3)
	v_add_f32_e32 v160, v16, v20
	v_fmac_f32_e32 v50, 0x3e9e377a, v24
	s_delay_alu instid0(VALU_DEP_3) | instskip(SKIP_2) | instid1(VALU_DEP_2)
	v_fmac_f32_e32 v34, 0x3e9e377a, v24
	v_fma_f32 v24, 0x3f167918, v49, -v28
	v_mul_f32_e32 v49, 0x3f4f1bbd, v49
	v_dual_add_f32 v35, v34, v24 :: v_dual_fmac_f32 v36, 0xbf167918, v37
	v_sub_f32_e32 v24, v34, v24
	s_delay_alu instid0(VALU_DEP_2) | instskip(SKIP_1) | instid1(VALU_DEP_2)
	v_dual_fmac_f32 v36, 0x3e9e377a, v31 :: v_dual_add_f32 v31, v55, v21
	v_sub_f32_e32 v21, v55, v21
	v_mul_f32_e32 v53, 0x3f167918, v36
	s_delay_alu instid0(VALU_DEP_1) | instskip(NEXT) | instid1(VALU_DEP_1)
	v_fmac_f32_e32 v53, 0x3f4f1bbd, v40
	v_sub_f32_e32 v37, v50, v53
	v_dual_fmac_f32 v141, 0xbf167918, v38 :: v_dual_add_f32 v28, v50, v53
	s_delay_alu instid0(VALU_DEP_1) | instskip(NEXT) | instid1(VALU_DEP_1)
	v_fmac_f32_e32 v141, 0x3e9e377a, v54
	v_add_f32_e32 v32, v141, v25
	v_sub_f32_e32 v25, v141, v25
	ds_store_2addr_b32 v43, v57, v28 offset1:75
	ds_store_2addr_b32 v43, v31, v32 offset0:150 offset1:225
	ds_store_2addr_b32 v65, v35, v33 offset0:44 offset1:119
	;; [unrolled: 1-line block ×4, first 2 shown]
	v_dual_sub_f32 v21, v152, v11 :: v_dual_and_b32 v28, 0xffff, v158
	v_sub_f32_e32 v35, v26, v29
	v_sub_f32_e32 v38, v14, v58
	v_sub_f32_e32 v24, v60, v15
	v_add_f32_e32 v37, v80, v161
	v_sub_f32_e32 v25, v161, v26
	v_sub_f32_e32 v31, v22, v29
	;; [unrolled: 1-line block ×3, first 2 shown]
	v_add_f32_e32 v21, v21, v24
	v_mul_u32_u24_e32 v24, 0xbb8, v28
	v_dual_add_f32 v37, v37, v26 :: v_dual_lshlrev_b32 v28, 2, v159
	v_add_f32_e32 v25, v25, v31
	v_mul_f32_e32 v159, 0xbf167918, v40
	s_delay_alu instid0(VALU_DEP_3) | instskip(SKIP_2) | instid1(VALU_DEP_4)
	v_add3_u32 v50, 0, v24, v28
	v_add_f32_e32 v28, v26, v29
	v_add_f32_e32 v37, v37, v29
	v_dual_sub_f32 v26, v26, v161 :: v_dual_fmac_f32 v159, 0x3f4f1bbd, v36
	v_add_f32_e32 v36, v155, v62
	s_delay_alu instid0(VALU_DEP_4) | instskip(SKIP_3) | instid1(VALU_DEP_3)
	v_fma_f32 v69, -0.5, v28, v80
	v_fmac_f32_e32 v80, -0.5, v73
	v_sub_f32_e32 v28, v149, v42
	v_add_f32_e32 v37, v37, v22
	v_dual_fmamk_f32 v73, v38, 0xbf737871, v80 :: v_dual_sub_f32 v32, v149, v14
	s_delay_alu instid0(VALU_DEP_1) | instskip(NEXT) | instid1(VALU_DEP_2)
	v_fmac_f32_e32 v73, 0x3f167918, v28
	v_add_f32_e32 v31, v32, v33
	v_add_f32_e32 v33, v14, v58
	s_delay_alu instid0(VALU_DEP_1) | instskip(SKIP_4) | instid1(VALU_DEP_4)
	v_fma_f32 v57, -0.5, v33, v144
	v_sub_f32_e32 v33, v161, v22
	v_sub_f32_e32 v22, v29, v22
	v_add_f32_e32 v29, v149, v42
	v_fma_f32 v48, 0xbf167918, v48, -v49
	v_fmamk_f32 v70, v33, 0xbf737871, v57
	v_fmac_f32_e32 v57, 0x3f737871, v33
	s_delay_alu instid0(VALU_DEP_4) | instskip(SKIP_1) | instid1(VALU_DEP_4)
	v_fmac_f32_e32 v144, -0.5, v29
	v_dual_add_f32 v24, v11, v15 :: v_dual_sub_f32 v29, v58, v42
	v_fmac_f32_e32 v70, 0xbf167918, v35
	s_delay_alu instid0(VALU_DEP_4) | instskip(NEXT) | instid1(VALU_DEP_4)
	v_dual_fmac_f32 v57, 0x3f167918, v35 :: v_dual_add_f32 v52, v152, v60
	v_fmamk_f32 v141, v35, 0x3f737871, v144
	v_dual_fmac_f32 v144, 0xbf737871, v35 :: v_dual_sub_f32 v35, v27, v30
	v_add_f32_e32 v22, v26, v22
	v_add_f32_e32 v32, v140, v152
	v_dual_sub_f32 v26, v14, v149 :: v_dual_fmamk_f32 v71, v28, 0x3f737871, v69
	v_fmac_f32_e32 v69, 0xbf737871, v28
	v_fma_f32 v24, -0.5, v24, v140
	s_delay_alu instid0(VALU_DEP_4)
	v_dual_fmac_f32 v73, 0x3e9e377a, v22 :: v_dual_add_f32 v32, v32, v11
	v_fmac_f32_e32 v141, 0xbf167918, v33
	v_add_f32_e32 v26, v26, v29
	v_sub_f32_e32 v34, v148, v59
	v_dual_fmac_f32 v57, 0x3e9e377a, v31 :: v_dual_fmac_f32 v140, -0.5, v52
	v_fmac_f32_e32 v144, 0x3f167918, v33
	s_delay_alu instid0(VALU_DEP_4) | instskip(NEXT) | instid1(VALU_DEP_4)
	v_fmac_f32_e32 v141, 0x3e9e377a, v26
	v_fmamk_f32 v39, v34, 0x3f737871, v24
	v_fmac_f32_e32 v24, 0xbf737871, v34
	v_fmamk_f32 v72, v41, 0xbf737871, v140
	v_dual_fmac_f32 v140, 0x3f737871, v41 :: v_dual_add_f32 v33, v27, v30
	s_delay_alu instid0(VALU_DEP_4) | instskip(SKIP_1) | instid1(VALU_DEP_4)
	v_fmac_f32_e32 v39, 0x3f167918, v41
	v_fmac_f32_e32 v71, 0x3f167918, v38
	;; [unrolled: 1-line block ×3, first 2 shown]
	s_delay_alu instid0(VALU_DEP_4)
	v_fmac_f32_e32 v140, 0xbf167918, v34
	v_sub_f32_e32 v34, v76, v9
	v_fmac_f32_e32 v24, 0xbf167918, v41
	v_fma_f32 v145, -0.5, v33, v46
	v_sub_f32_e32 v33, v163, v6
	v_dual_add_f32 v41, v79, v12 :: v_dual_fmac_f32 v80, 0x3f737871, v38
	v_dual_fmac_f32 v69, 0xbf167918, v38 :: v_dual_add_f32 v32, v32, v15
	v_fmac_f32_e32 v71, 0x3e9e377a, v25
	v_fmac_f32_e32 v39, 0x3e9e377a, v21
	s_delay_alu instid0(VALU_DEP_4) | instskip(NEXT) | instid1(VALU_DEP_4)
	v_fmac_f32_e32 v80, 0xbf167918, v28
	v_dual_fmac_f32 v69, 0x3e9e377a, v25 :: v_dual_add_f32 v32, v32, v60
	v_sub_f32_e32 v52, v11, v152
	v_dual_sub_f32 v54, v15, v60 :: v_dual_fmamk_f32 v147, v33, 0x3f737871, v145
	s_delay_alu instid0(VALU_DEP_4) | instskip(NEXT) | instid1(VALU_DEP_4)
	v_fmac_f32_e32 v80, 0x3e9e377a, v22
	v_dual_fmac_f32 v70, 0x3e9e377a, v31 :: v_dual_add_f32 v55, v32, v37
	s_delay_alu instid0(VALU_DEP_3) | instskip(SKIP_1) | instid1(VALU_DEP_4)
	v_add_f32_e32 v52, v52, v54
	v_sub_f32_e32 v29, v32, v37
	v_mul_f32_e32 v25, 0x3e9e377a, v80
	s_delay_alu instid0(VALU_DEP_4) | instskip(SKIP_3) | instid1(VALU_DEP_4)
	v_dual_mul_f32 v53, 0x3f167918, v70 :: v_dual_sub_f32 v38, v0, v4
	v_fmac_f32_e32 v145, 0xbf737871, v33
	v_mul_f32_e32 v22, 0x3f737871, v141
	v_dual_fmac_f32 v140, 0x3e9e377a, v52 :: v_dual_add_f32 v149, v78, v163
	v_fmac_f32_e32 v53, 0x3f4f1bbd, v71
	v_fmac_f32_e32 v24, 0x3e9e377a, v21
	s_delay_alu instid0(VALU_DEP_4) | instskip(SKIP_1) | instid1(VALU_DEP_4)
	v_fmac_f32_e32 v22, 0x3e9e377a, v73
	v_dual_sub_f32 v64, v64, v17 :: v_dual_fmac_f32 v51, 0x3e9e377a, v56
	v_add_f32_e32 v74, v39, v53
	v_sub_f32_e32 v32, v39, v53
	v_sub_f32_e32 v39, v3, v5
	;; [unrolled: 1-line block ×3, first 2 shown]
	v_add_f32_e32 v17, v19, v151
	ds_store_2addr_b32 v50, v55, v74 offset1:75
	v_add_f32_e32 v55, v67, v23
	v_fmac_f32_e32 v145, 0xbf167918, v39
	v_fmac_f32_e32 v144, 0x3e9e377a, v26
	v_mul_f32_e32 v26, 0x3f4f1bbd, v69
	v_fmac_f32_e32 v147, 0x3f167918, v39
	v_fmac_f32_e32 v72, 0x3e9e377a, v52
	v_add_nc_u32_e32 v74, 0x400, v50
	v_fma_f32 v25, 0x3f737871, v144, -v25
	v_fma_f32 v21, 0x3f167918, v57, -v26
	v_fma_f32 v56, 0xbf737871, v77, -v81
	v_dual_add_f32 v26, v72, v22 :: v_dual_add_f32 v17, v17, v61
	s_delay_alu instid0(VALU_DEP_4) | instskip(NEXT) | instid1(VALU_DEP_4)
	v_add_f32_e32 v28, v140, v25
	v_add_f32_e32 v31, v24, v21
	ds_store_2addr_b32 v50, v26, v28 offset0:150 offset1:225
	ds_store_2addr_b32 v74, v31, v29 offset0:44 offset1:119
	v_sub_f32_e32 v29, v163, v3
	v_dual_sub_f32 v31, v6, v5 :: v_dual_sub_f32 v26, v79, v2
	v_sub_f32_e32 v21, v24, v21
	v_add_f32_e32 v161, v17, v62
	v_sub_f32_e32 v11, v11, v15
	s_delay_alu instid0(VALU_DEP_4) | instskip(SKIP_1) | instid1(VALU_DEP_1)
	v_add_f32_e32 v29, v29, v31
	v_dual_add_f32 v31, v2, v8 :: v_dual_add_f32 v14, v75, v14
	v_fma_f32 v31, -0.5, v31, v139
	s_delay_alu instid0(VALU_DEP_1) | instskip(NEXT) | instid1(VALU_DEP_1)
	v_dual_sub_f32 v28, v12, v8 :: v_dual_fmamk_f32 v37, v34, 0x3f737871, v31
	v_dual_fmac_f32 v31, 0xbf737871, v34 :: v_dual_add_f32 v24, v26, v28
	v_sub_f32_e32 v26, v67, v27
	v_sub_f32_e32 v28, v23, v30
	s_delay_alu instid0(VALU_DEP_4) | instskip(NEXT) | instid1(VALU_DEP_2)
	v_fmac_f32_e32 v37, 0x3f167918, v38
	v_dual_fmac_f32 v31, 0xbf167918, v38 :: v_dual_add_f32 v26, v26, v28
	v_dual_add_f32 v28, v139, v79 :: v_dual_fmac_f32 v139, -0.5, v41
	v_sub_f32_e32 v41, v2, v79
	s_delay_alu instid0(VALU_DEP_3) | instskip(SKIP_1) | instid1(VALU_DEP_4)
	v_fmac_f32_e32 v147, 0x3e9e377a, v26
	v_sub_f32_e32 v22, v72, v22
	v_fmamk_f32 v54, v38, 0xbf737871, v139
	v_fmac_f32_e32 v139, 0x3f737871, v38
	v_add_f32_e32 v41, v41, v53
	v_fmac_f32_e32 v145, 0x3e9e377a, v26
	v_fmac_f32_e32 v31, 0x3e9e377a, v24
	;; [unrolled: 1-line block ×5, first 2 shown]
	v_mul_f32_e32 v26, 0x3f4f1bbd, v145
	s_delay_alu instid0(VALU_DEP_4) | instskip(NEXT) | instid1(VALU_DEP_4)
	v_fmac_f32_e32 v54, 0x3e9e377a, v41
	v_fmac_f32_e32 v139, 0x3e9e377a, v41
	v_add_nc_u32_e32 v72, 0x600, v50
	ds_store_2addr_b32 v72, v32, v22 offset0:66 offset1:141
	v_dual_sub_f32 v22, v140, v25 :: v_dual_and_b32 v25, 0xffff, v156
	v_lshlrev_b32_e32 v32, 2, v157
	s_delay_alu instid0(VALU_DEP_2) | instskip(NEXT) | instid1(VALU_DEP_1)
	v_mul_u32_u24_e32 v25, 0xbb8, v25
	v_add3_u32 v142, 0, v25, v32
	v_dual_add_f32 v32, v46, v67 :: v_dual_add_f32 v25, v3, v5
	v_fmac_f32_e32 v46, -0.5, v55
	s_delay_alu instid0(VALU_DEP_3) | instskip(NEXT) | instid1(VALU_DEP_3)
	v_add_nc_u32_e32 v154, 0x400, v142
	v_add_f32_e32 v32, v32, v27
	s_delay_alu instid0(VALU_DEP_4) | instskip(SKIP_2) | instid1(VALU_DEP_4)
	v_fma_f32 v143, -0.5, v25, v78
	v_sub_f32_e32 v25, v67, v23
	v_sub_f32_e32 v27, v27, v67
	v_dual_fmamk_f32 v67, v39, 0xbf737871, v46 :: v_dual_add_f32 v32, v32, v30
	v_fmac_f32_e32 v46, 0x3f737871, v39
	s_delay_alu instid0(VALU_DEP_4) | instskip(SKIP_1) | instid1(VALU_DEP_4)
	v_fmamk_f32 v146, v25, 0xbf737871, v143
	v_fmac_f32_e32 v143, 0x3f737871, v25
	v_dual_fmac_f32 v67, 0x3f167918, v33 :: v_dual_add_f32 v32, v32, v23
	v_dual_sub_f32 v23, v30, v23 :: v_dual_add_f32 v30, v163, v6
	v_fmac_f32_e32 v46, 0xbf167918, v33
	v_fmac_f32_e32 v146, 0xbf167918, v35
	;; [unrolled: 1-line block ×3, first 2 shown]
	s_delay_alu instid0(VALU_DEP_4) | instskip(SKIP_1) | instid1(VALU_DEP_2)
	v_dual_add_f32 v23, v27, v23 :: v_dual_fmac_f32 v78, -0.5, v30
	v_dual_sub_f32 v27, v3, v163 :: v_dual_sub_f32 v30, v5, v6
	v_dual_fmac_f32 v146, 0x3e9e377a, v29 :: v_dual_fmac_f32 v67, 0x3e9e377a, v23
	s_delay_alu instid0(VALU_DEP_3) | instskip(NEXT) | instid1(VALU_DEP_3)
	v_fmamk_f32 v150, v35, 0x3f737871, v78
	v_dual_fmac_f32 v46, 0x3e9e377a, v23 :: v_dual_add_f32 v27, v27, v30
	s_delay_alu instid0(VALU_DEP_3) | instskip(SKIP_1) | instid1(VALU_DEP_4)
	v_mul_f32_e32 v52, 0x3f167918, v146
	v_fmac_f32_e32 v78, 0xbf737871, v35
	v_fmac_f32_e32 v150, 0xbf167918, v25
	;; [unrolled: 1-line block ×3, first 2 shown]
	v_add_nc_u32_e32 v156, 0x600, v142
	v_fmac_f32_e32 v52, 0x3f4f1bbd, v147
	v_fmac_f32_e32 v78, 0x3f167918, v25
	v_dual_fmac_f32 v150, 0x3e9e377a, v27 :: v_dual_mul_f32 v25, 0x3e9e377a, v46
	v_fma_f32 v24, 0x3f167918, v143, -v26
	s_delay_alu instid0(VALU_DEP_4) | instskip(NEXT) | instid1(VALU_DEP_4)
	v_add_f32_e32 v26, v37, v52
	v_fmac_f32_e32 v78, 0x3e9e377a, v27
	s_delay_alu instid0(VALU_DEP_4) | instskip(SKIP_4) | instid1(VALU_DEP_4)
	v_mul_f32_e32 v23, 0x3f737871, v150
	v_add_f32_e32 v28, v28, v2
	v_add_f32_e32 v30, v31, v24
	v_sub_f32_e32 v2, v2, v8
	v_fma_f32 v25, 0x3f737871, v78, -v25
	v_dual_fmac_f32 v23, 0x3e9e377a, v67 :: v_dual_add_f32 v28, v28, v8
	v_dual_add_f32 v3, v149, v3 :: v_dual_add_nc_u32 v140, 0x800, v50
	s_delay_alu instid0(VALU_DEP_3) | instskip(NEXT) | instid1(VALU_DEP_3)
	v_add_f32_e32 v29, v139, v25
	v_add_f32_e32 v27, v54, v23
	s_delay_alu instid0(VALU_DEP_4) | instskip(SKIP_1) | instid1(VALU_DEP_2)
	v_dual_sub_f32 v23, v54, v23 :: v_dual_add_f32 v28, v28, v12
	v_sub_f32_e32 v12, v79, v12
	v_add_f32_e32 v53, v28, v32
	v_sub_f32_e32 v28, v28, v32
	v_sub_f32_e32 v32, v37, v52
	ds_store_2addr_b32 v140, v22, v21 offset0:88 offset1:163
	ds_store_2addr_b32 v142, v53, v26 offset1:75
	ds_store_2addr_b32 v142, v27, v29 offset0:150 offset1:225
	ds_store_2addr_b32 v154, v30, v28 offset0:44 offset1:119
	;; [unrolled: 1-line block ×3, first 2 shown]
	v_add_f32_e32 v23, v151, v61
	v_sub_f32_e32 v21, v139, v25
	v_dual_sub_f32 v22, v31, v24 :: v_dual_add_nc_u32 v139, 0x800, v142
	v_sub_f32_e32 v24, v62, v61
	s_delay_alu instid0(VALU_DEP_4)
	v_fma_f32 v153, -0.5, v23, v164
	v_dual_sub_f32 v23, v155, v151 :: v_dual_fmac_f32 v164, -0.5, v36
	ds_store_2addr_b32 v139, v21, v22 offset0:88 offset1:163
	global_wb scope:SCOPE_SE
	s_wait_dscnt 0x0
	v_fmamk_f32 v157, v63, 0xbf737871, v153
	v_add_f32_e32 v158, v23, v24
	s_barrier_signal -1
	s_barrier_wait -1
	global_inv scope:SCOPE_SE
	ds_load_b32 v39, v135
	ds_load_b32 v38, v136
	;; [unrolled: 1-line block ×7, first 2 shown]
	ds_load_b32 v55, v114 offset:14500
	ds_load_2addr_b32 v[20:21], v118 offset0:95 offset1:220
	ds_load_2addr_b32 v[18:19], v120 offset0:77 offset1:202
	ds_load_2addr_b32 v[16:17], v119 offset0:59 offset1:184
	ds_load_2addr_b32 v[26:27], v117 offset0:107 offset1:232
	ds_load_2addr_b32 v[22:23], v124 offset0:89 offset1:214
	ds_load_2addr_b32 v[24:25], v122 offset0:71 offset1:196
	ds_load_2addr_b32 v[28:29], v123 offset0:53 offset1:178
	ds_load_2addr_b32 v[30:31], v127 offset0:101 offset1:226
	v_sub_f32_e32 v133, v151, v155
	v_dual_sub_f32 v61, v61, v62 :: v_dual_fmamk_f32 v62, v64, 0x3f737871, v164
	v_fmac_f32_e32 v164, 0xbf737871, v64
	v_fmac_f32_e32 v157, 0xbf167918, v64
	v_fmac_f32_e32 v153, 0x3f737871, v63
	s_delay_alu instid0(VALU_DEP_4) | instskip(NEXT) | instid1(VALU_DEP_4)
	v_dual_add_f32 v61, v133, v61 :: v_dual_fmac_f32 v62, 0xbf167918, v63
	v_fmac_f32_e32 v164, 0x3f167918, v63
	s_delay_alu instid0(VALU_DEP_4) | instskip(NEXT) | instid1(VALU_DEP_4)
	v_fmac_f32_e32 v157, 0x3e9e377a, v158
	v_fmac_f32_e32 v153, 0x3f167918, v64
	s_delay_alu instid0(VALU_DEP_4) | instskip(NEXT) | instid1(VALU_DEP_4)
	v_dual_add_f32 v63, v161, v160 :: v_dual_fmac_f32 v62, 0x3e9e377a, v61
	v_fmac_f32_e32 v164, 0x3e9e377a, v61
	s_delay_alu instid0(VALU_DEP_3)
	v_dual_add_f32 v64, v157, v159 :: v_dual_fmac_f32 v153, 0x3e9e377a, v158
	ds_load_2addr_b32 v[32:33], v130 offset0:83 offset1:208
	v_add_f32_e32 v49, v62, v51
	v_add_f32_e32 v61, v164, v56
	ds_load_2addr_b32 v[34:35], v128 offset0:65 offset1:190
	ds_load_2addr_b32 v[36:37], v132 offset0:47 offset1:172
	global_wb scope:SCOPE_SE
	s_wait_dscnt 0x0
	s_barrier_signal -1
	s_barrier_wait -1
	global_inv scope:SCOPE_SE
	ds_store_2addr_b32 v43, v63, v64 offset1:75
	v_sub_f32_e32 v63, v161, v160
	v_add_f32_e32 v64, v153, v48
	ds_store_2addr_b32 v43, v49, v61 offset0:150 offset1:225
	ds_store_2addr_b32 v65, v64, v63 offset0:44 offset1:119
	v_add_f32_e32 v43, v1, v148
	v_sub_f32_e32 v77, v157, v159
	v_dual_sub_f32 v51, v62, v51 :: v_dual_sub_f32 v56, v164, v56
	s_delay_alu instid0(VALU_DEP_3)
	v_dual_sub_f32 v48, v153, v48 :: v_dual_add_f32 v43, v43, v10
	ds_store_2addr_b32 v66, v77, v51 offset0:66 offset1:141
	ds_store_2addr_b32 v68, v56, v48 offset0:88 offset1:163
	v_sub_f32_e32 v49, v148, v10
	v_add_f32_e32 v15, v43, v13
	v_sub_f32_e32 v51, v59, v13
	s_delay_alu instid0(VALU_DEP_2) | instskip(SKIP_1) | instid1(VALU_DEP_3)
	v_dual_add_f32 v15, v15, v59 :: v_dual_add_f32 v56, v10, v13
	v_dual_sub_f32 v10, v10, v148 :: v_dual_sub_f32 v13, v13, v59
	v_add_f32_e32 v43, v49, v51
	s_delay_alu instid0(VALU_DEP_3) | instskip(NEXT) | instid1(VALU_DEP_3)
	v_fma_f32 v49, -0.5, v56, v1
	v_add_f32_e32 v10, v10, v13
	v_dual_mul_f32 v13, 0xbf737871, v73 :: v_dual_sub_f32 v48, v152, v60
	s_delay_alu instid0(VALU_DEP_1) | instskip(NEXT) | instid1(VALU_DEP_2)
	v_fmac_f32_e32 v13, 0x3e9e377a, v141
	v_fmamk_f32 v51, v48, 0xbf737871, v49
	v_fmac_f32_e32 v49, 0x3f737871, v48
	s_delay_alu instid0(VALU_DEP_2) | instskip(NEXT) | instid1(VALU_DEP_2)
	v_fmac_f32_e32 v51, 0xbf167918, v11
	v_fmac_f32_e32 v49, 0x3f167918, v11
	s_delay_alu instid0(VALU_DEP_2) | instskip(SKIP_2) | instid1(VALU_DEP_4)
	v_fmac_f32_e32 v51, 0x3e9e377a, v43
	v_add_f32_e32 v60, v148, v59
	v_add_f32_e32 v59, v76, v9
	v_fmac_f32_e32 v49, 0x3e9e377a, v43
	v_mul_f32_e32 v43, 0x3f4f1bbd, v57
	v_sub_f32_e32 v57, v9, v4
	v_fmac_f32_e32 v1, -0.5, v60
	s_delay_alu instid0(VALU_DEP_1) | instskip(SKIP_1) | instid1(VALU_DEP_2)
	v_fmamk_f32 v56, v11, 0x3f737871, v1
	v_fmac_f32_e32 v1, 0xbf737871, v11
	v_fmac_f32_e32 v56, 0xbf167918, v48
	s_delay_alu instid0(VALU_DEP_2) | instskip(NEXT) | instid1(VALU_DEP_2)
	v_fmac_f32_e32 v1, 0x3f167918, v48
	v_fmac_f32_e32 v56, 0x3e9e377a, v10
	s_delay_alu instid0(VALU_DEP_2) | instskip(SKIP_1) | instid1(VALU_DEP_3)
	v_fmac_f32_e32 v1, 0x3e9e377a, v10
	v_mul_f32_e32 v10, 0xbf167918, v71
	v_add_f32_e32 v48, v56, v13
	v_sub_f32_e32 v13, v56, v13
	v_dual_add_f32 v11, v14, v58 :: v_dual_mul_f32 v14, 0x3e9e377a, v144
	s_delay_alu instid0(VALU_DEP_4) | instskip(NEXT) | instid1(VALU_DEP_2)
	v_fmac_f32_e32 v10, 0x3f4f1bbd, v70
	v_dual_add_f32 v58, v0, v4 :: v_dual_add_f32 v11, v11, v42
	s_delay_alu instid0(VALU_DEP_3) | instskip(SKIP_1) | instid1(VALU_DEP_3)
	v_fma_f32 v14, 0xbf737871, v80, -v14
	v_fma_f32 v42, 0xbf167918, v69, -v43
	v_add_f32_e32 v43, v15, v11
	v_sub_f32_e32 v11, v15, v11
	v_add_f32_e32 v15, v51, v10
	v_sub_f32_e32 v10, v51, v10
	v_add_f32_e32 v51, v1, v14
	v_dual_sub_f32 v1, v1, v14 :: v_dual_add_f32 v14, v7, v76
	v_add_f32_e32 v56, v49, v42
	v_dual_sub_f32 v42, v49, v42 :: v_dual_sub_f32 v49, v76, v0
	s_delay_alu instid0(VALU_DEP_3) | instskip(SKIP_1) | instid1(VALU_DEP_2)
	v_add_f32_e32 v14, v14, v0
	v_sub_f32_e32 v0, v0, v76
	v_add_f32_e32 v8, v14, v4
	v_sub_f32_e32 v4, v4, v9
	s_delay_alu instid0(VALU_DEP_1) | instskip(SKIP_3) | instid1(VALU_DEP_1)
	v_add_f32_e32 v0, v0, v4
	v_add_f32_e32 v14, v49, v57
	v_fma_f32 v49, -0.5, v58, v7
	v_fmac_f32_e32 v7, -0.5, v59
	v_fmamk_f32 v57, v2, 0x3f737871, v7
	v_fmac_f32_e32 v7, 0xbf737871, v2
	s_delay_alu instid0(VALU_DEP_2) | instskip(NEXT) | instid1(VALU_DEP_2)
	v_fmac_f32_e32 v57, 0xbf167918, v12
	v_dual_fmac_f32 v7, 0x3f167918, v12 :: v_dual_add_f32 v8, v8, v9
	v_fmamk_f32 v9, v12, 0xbf737871, v49
	v_fmac_f32_e32 v49, 0x3f737871, v12
	s_delay_alu instid0(VALU_DEP_4) | instskip(NEXT) | instid1(VALU_DEP_3)
	v_fmac_f32_e32 v57, 0x3e9e377a, v0
	v_fmac_f32_e32 v9, 0xbf167918, v2
	s_delay_alu instid0(VALU_DEP_1) | instskip(NEXT) | instid1(VALU_DEP_4)
	v_fmac_f32_e32 v9, 0x3e9e377a, v14
	v_dual_fmac_f32 v49, 0x3f167918, v2 :: v_dual_add_f32 v2, v3, v5
	v_mul_f32_e32 v5, 0x3f4f1bbd, v143
	v_mul_f32_e32 v3, 0xbf737871, v67
	s_delay_alu instid0(VALU_DEP_3) | instskip(NEXT) | instid1(VALU_DEP_4)
	v_fmac_f32_e32 v49, 0x3e9e377a, v14
	v_add_f32_e32 v2, v2, v6
	s_delay_alu instid0(VALU_DEP_4) | instskip(SKIP_2) | instid1(VALU_DEP_4)
	v_fma_f32 v5, 0xbf167918, v145, -v5
	v_mul_f32_e32 v4, 0x3e9e377a, v78
	v_fmac_f32_e32 v3, 0x3e9e377a, v150
	v_dual_fmac_f32 v7, 0x3e9e377a, v0 :: v_dual_add_f32 v6, v8, v2
	s_delay_alu instid0(VALU_DEP_4)
	v_add_f32_e32 v14, v49, v5
	v_sub_f32_e32 v5, v49, v5
	v_fma_f32 v4, 0xbf737871, v46, -v4
	v_mul_f32_e32 v0, 0xbf167918, v147
	v_sub_f32_e32 v2, v8, v2
	v_add_f32_e32 v8, v57, v3
	s_delay_alu instid0(VALU_DEP_3) | instskip(NEXT) | instid1(VALU_DEP_1)
	v_dual_sub_f32 v3, v57, v3 :: v_dual_fmac_f32 v0, 0x3f4f1bbd, v146
	v_add_f32_e32 v12, v9, v0
	v_sub_f32_e32 v0, v9, v0
	v_add_f32_e32 v9, v7, v4
	v_sub_f32_e32 v4, v7, v4
	ds_store_2addr_b32 v50, v43, v15 offset1:75
	ds_store_2addr_b32 v50, v48, v51 offset0:150 offset1:225
	ds_store_2addr_b32 v74, v56, v11 offset0:44 offset1:119
	;; [unrolled: 1-line block ×4, first 2 shown]
	ds_store_2addr_b32 v142, v6, v12 offset1:75
	ds_store_2addr_b32 v142, v8, v9 offset0:150 offset1:225
	ds_store_2addr_b32 v154, v14, v2 offset0:44 offset1:119
	;; [unrolled: 1-line block ×4, first 2 shown]
	global_wb scope:SCOPE_SE
	s_wait_dscnt 0x0
	s_barrier_signal -1
	s_barrier_wait -1
	global_inv scope:SCOPE_SE
	s_and_saveexec_b32 s0, vcc_lo
	s_cbranch_execz .LBB0_15
; %bb.14:
	v_lshlrev_b32_e32 v46, 2, v115
	v_sub_nc_u32_e32 v133, 0, v129
	v_sub_nc_u32_e32 v131, 0, v131
	s_delay_alu instid0(VALU_DEP_3) | instskip(NEXT) | instid1(VALU_DEP_1)
	v_lshlrev_b64_e32 v[0:1], 3, v[46:47]
	v_add_co_u32 v0, vcc_lo, s4, v0
	s_wait_alu 0xfffd
	s_delay_alu instid0(VALU_DEP_2)
	v_add_co_ci_u32_e32 v1, vcc_lo, s5, v1, vcc_lo
	s_clause 0x1
	global_load_b128 v[12:15], v[0:1], off offset:5976
	global_load_b128 v[8:11], v[0:1], off offset:5992
	v_lshlrev_b32_e32 v46, 2, v108
	v_sub_nc_u32_e32 v108, 0, v126
	s_delay_alu instid0(VALU_DEP_2) | instskip(SKIP_2) | instid1(VALU_DEP_2)
	v_lshlrev_b64_e32 v[0:1], 3, v[46:47]
	v_lshlrev_b32_e32 v46, 2, v107
	v_sub_nc_u32_e32 v107, 0, v125
	v_lshlrev_b64_e32 v[42:43], 3, v[46:47]
	s_delay_alu instid0(VALU_DEP_4) | instskip(SKIP_3) | instid1(VALU_DEP_4)
	v_add_co_u32 v0, vcc_lo, s4, v0
	s_wait_alu 0xfffd
	v_add_co_ci_u32_e32 v1, vcc_lo, s5, v1, vcc_lo
	v_lshlrev_b32_e32 v46, 2, v106
	v_add_co_u32 v42, vcc_lo, s4, v42
	s_wait_alu 0xfffd
	v_add_co_ci_u32_e32 v43, vcc_lo, s5, v43, vcc_lo
	s_clause 0x3
	global_load_b128 v[4:7], v[0:1], off offset:5976
	global_load_b128 v[0:3], v[0:1], off offset:5992
	;; [unrolled: 1-line block ×4, first 2 shown]
	v_lshlrev_b64_e32 v[42:43], 3, v[46:47]
	v_lshlrev_b32_e32 v46, 2, v104
	v_sub_nc_u32_e32 v104, 0, v116
	v_sub_nc_u32_e32 v106, 0, v121
	s_delay_alu instid0(VALU_DEP_4)
	v_add_co_u32 v42, vcc_lo, s4, v42
	s_wait_alu 0xfffd
	v_add_co_ci_u32_e32 v43, vcc_lo, s5, v43, vcc_lo
	s_clause 0x1
	global_load_b128 v[64:67], v[42:43], off offset:5976
	global_load_b128 v[68:71], v[42:43], off offset:5992
	v_lshlrev_b64_e32 v[42:43], 3, v[46:47]
	s_delay_alu instid0(VALU_DEP_1) | instskip(SKIP_1) | instid1(VALU_DEP_2)
	v_add_co_u32 v42, vcc_lo, s4, v42
	s_wait_alu 0xfffd
	v_add_co_ci_u32_e32 v43, vcc_lo, s5, v43, vcc_lo
	s_clause 0x1
	global_load_b128 v[72:75], v[42:43], off offset:5976
	global_load_b128 v[76:79], v[42:43], off offset:5992
	ds_load_2addr_b32 v[42:43], v120 offset0:77 offset1:202
	ds_load_2addr_b32 v[50:51], v118 offset0:95 offset1:220
	ds_load_2addr_b32 v[48:49], v119 offset0:59 offset1:184
	ds_load_2addr_b32 v[80:81], v130 offset0:83 offset1:208
	ds_load_2addr_b32 v[115:116], v127 offset0:101 offset1:226
	ds_load_2addr_b32 v[118:119], v128 offset0:65 offset1:190
	ds_load_2addr_b32 v[120:121], v132 offset0:47 offset1:172
	ds_load_2addr_b32 v[124:125], v124 offset0:89 offset1:214
	ds_load_2addr_b32 v[126:127], v117 offset0:107 offset1:232
	ds_load_2addr_b32 v[128:129], v122 offset0:71 offset1:196
	ds_load_2addr_b32 v[122:123], v123 offset0:53 offset1:178
	ds_load_b32 v117, v114 offset:14500
	ds_load_b32 v114, v114
	v_lshlrev_b32_e32 v46, 2, v101
	v_add_nc_u32_e32 v113, v113, v131
	v_add_nc_u32_e32 v107, v110, v107
	;; [unrolled: 1-line block ×3, first 2 shown]
	s_delay_alu instid0(VALU_DEP_4)
	v_lshlrev_b64_e32 v[46:47], 3, v[46:47]
	ds_load_b32 v130, v113
	v_add_co_u32 v46, vcc_lo, s4, v46
	s_wait_alu 0xfffd
	v_add_co_ci_u32_e32 v47, vcc_lo, s5, v47, vcc_lo
	s_wait_loadcnt_dscnt 0x802
	v_mul_f32_e32 v136, v10, v117
	v_mul_f32_e32 v117, v11, v117
	v_mul_f32_e32 v135, v8, v48
	s_delay_alu instid0(VALU_DEP_2) | instskip(SKIP_1) | instid1(VALU_DEP_3)
	v_fma_f32 v10, v55, v10, -v117
	v_add_nc_u32_e32 v112, v112, v133
	v_dual_fmac_f32 v135, v16, v9 :: v_dual_fmac_f32 v136, v55, v11
	v_add_nc_u32_e32 v108, v111, v108
	ds_load_b32 v131, v112
	ds_load_b32 v132, v108
	;; [unrolled: 1-line block ×4, first 2 shown]
	s_clause 0x1
	global_load_b128 v[106:109], v[46:47], off offset:5992
	global_load_b128 v[110:113], v[46:47], off offset:5976
	v_mul_f32_e32 v47, v12, v50
	v_mul_f32_e32 v46, v14, v42
	s_delay_alu instid0(VALU_DEP_2) | instskip(SKIP_1) | instid1(VALU_DEP_2)
	v_dual_mul_f32 v50, v13, v50 :: v_dual_fmac_f32 v47, v20, v13
	v_mul_f32_e32 v48, v9, v48
	v_fma_f32 v9, v20, v12, -v50
	s_wait_loadcnt 0x9
	v_dual_mul_f32 v20, v7, v81 :: v_dual_mul_f32 v13, v4, v116
	s_wait_dscnt 0x4
	v_add_f32_e32 v137, v47, v130
	v_fma_f32 v8, v16, v8, -v48
	s_wait_loadcnt 0x8
	v_dual_mul_f32 v16, v0, v119 :: v_dual_sub_f32 v55, v9, v10
	v_dual_fmac_f32 v13, v31, v5 :: v_dual_add_f32 v140, v9, v10
	s_delay_alu instid0(VALU_DEP_3) | instskip(SKIP_3) | instid1(VALU_DEP_4)
	v_dual_sub_f32 v139, v8, v10 :: v_dual_fmac_f32 v46, v18, v15
	v_dual_mul_f32 v12, v6, v81 :: v_dual_add_f32 v81, v47, v136
	v_mul_f32_e32 v42, v15, v42
	v_mul_f32_e32 v15, v3, v121
	v_sub_f32_e32 v141, v46, v135
	v_dual_sub_f32 v143, v10, v8 :: v_dual_fmac_f32 v16, v35, v1
	s_delay_alu instid0(VALU_DEP_4)
	v_fma_f32 v11, v18, v14, -v42
	v_mul_f32_e32 v18, v2, v121
	v_mul_f32_e32 v14, v5, v116
	;; [unrolled: 1-line block ×3, first 2 shown]
	v_sub_f32_e32 v48, v46, v47
	s_wait_loadcnt 0x7
	v_dual_sub_f32 v50, v135, v136 :: v_dual_mul_f32 v5, v57, v115
	v_fma_f32 v4, v31, v4, -v14
	v_fma_f32 v31, v35, v0, -v42
	v_mul_f32_e32 v35, v56, v115
	v_fmac_f32_e32 v18, v37, v3
	v_fma_f32 v37, v37, v2, -v15
	v_sub_f32_e32 v117, v47, v46
	v_sub_f32_e32 v119, v136, v135
	v_dual_add_f32 v121, v46, v135 :: v_dual_sub_f32 v138, v11, v9
	s_wait_loadcnt 0x6
	v_mul_f32_e32 v145, v62, v120
	v_dual_sub_f32 v47, v47, v136 :: v_dual_sub_f32 v142, v9, v11
	v_add_f32_e32 v9, v41, v9
	v_fma_f32 v20, v33, v6, -v20
	v_mul_f32_e32 v6, v63, v120
	v_mul_f32_e32 v14, v61, v118
	v_fma_f32 v1, -0.5, v81, v130
	v_sub_f32_e32 v81, v4, v37
	v_add_f32_e32 v115, v13, v18
	v_fmac_f32_e32 v12, v33, v7
	v_add_f32_e32 v144, v11, v8
	v_dual_mul_f32 v33, v58, v80 :: v_dual_mul_f32 v42, v60, v118
	v_mul_f32_e32 v7, v59, v80
	v_dual_sub_f32 v116, v11, v8 :: v_dual_add_f32 v15, v46, v137
	v_add_f32_e32 v48, v48, v50
	v_fma_f32 v3, -0.5, v121, v130
	s_wait_dscnt 0x3
	v_add_f32_e32 v121, v13, v131
	v_add_f32_e32 v46, v138, v139
	v_fma_f32 v0, -0.5, v140, v41
	v_dual_add_f32 v9, v11, v9 :: v_dual_add_f32 v80, v142, v143
	v_sub_f32_e32 v11, v12, v13
	v_fma_f32 v2, -0.5, v144, v41
	v_dual_sub_f32 v41, v16, v18 :: v_dual_add_f32 v50, v117, v119
	v_sub_f32_e32 v139, v12, v16
	v_dual_sub_f32 v117, v20, v31 :: v_dual_sub_f32 v118, v13, v12
	v_fmac_f32_e32 v33, v32, v59
	v_sub_f32_e32 v119, v18, v16
	v_dual_add_f32 v120, v12, v16 :: v_dual_sub_f32 v143, v37, v31
	v_dual_sub_f32 v130, v20, v4 :: v_dual_fmac_f32 v35, v30, v57
	v_sub_f32_e32 v137, v31, v37
	v_add_f32_e32 v138, v4, v37
	v_dual_sub_f32 v140, v13, v18 :: v_dual_fmac_f32 v145, v36, v63
	v_sub_f32_e32 v142, v4, v20
	v_add_f32_e32 v144, v20, v31
	s_wait_loadcnt 0x5
	v_dual_fmac_f32 v42, v34, v61 :: v_dual_mul_f32 v59, v64, v127
	v_fma_f32 v30, v30, v56, -v5
	v_fma_f32 v56, v36, v62, -v6
	;; [unrolled: 1-line block ×4, first 2 shown]
	v_mul_f32_e32 v58, v66, v125
	s_wait_loadcnt 0x4
	v_mul_f32_e32 v60, v68, v129
	v_dual_add_f32 v146, v40, v4 :: v_dual_mul_f32 v61, v70, v123
	v_dual_mul_f32 v32, v65, v127 :: v_dual_add_f32 v41, v11, v41
	v_mul_f32_e32 v34, v71, v123
	v_dual_mul_f32 v62, v67, v125 :: v_dual_sub_f32 v125, v30, v56
	v_mul_f32_e32 v63, v69, v129
	v_fmamk_f32 v7, v116, 0xbf737871, v1
	v_fmac_f32_e32 v1, 0x3f737871, v116
	v_fmamk_f32 v5, v55, 0x3f737871, v3
	v_fmac_f32_e32 v3, 0xbf737871, v55
	v_dual_add_f32 v123, v135, v15 :: v_dual_fmamk_f32 v6, v141, 0x3f737871, v0
	v_dual_fmamk_f32 v4, v47, 0xbf737871, v2 :: v_dual_sub_f32 v129, v36, v57
	v_dual_fmac_f32 v2, 0x3f737871, v47 :: v_dual_add_f32 v127, v35, v145
	v_fma_f32 v13, -0.5, v115, v131
	v_add_f32_e32 v115, v118, v119
	v_fma_f32 v15, -0.5, v120, v131
	v_dual_add_f32 v118, v12, v121 :: v_dual_add_f32 v135, v33, v42
	v_add_f32_e32 v119, v130, v137
	v_fma_f32 v12, -0.5, v138, v40
	s_wait_dscnt 0x2
	v_dual_add_f32 v120, v142, v143 :: v_dual_add_f32 v137, v35, v132
	v_fma_f32 v14, -0.5, v144, v40
	v_dual_sub_f32 v40, v33, v35 :: v_dual_sub_f32 v147, v56, v57
	v_dual_sub_f32 v121, v42, v145 :: v_dual_fmac_f32 v58, v23, v67
	s_wait_loadcnt 0x2
	v_dual_mul_f32 v67, v76, v128 :: v_dual_fmac_f32 v60, v25, v69
	v_dual_mul_f32 v69, v75, v124 :: v_dual_fmac_f32 v0, 0xbf737871, v141
	v_sub_f32_e32 v131, v145, v42
	v_add_f32_e32 v8, v9, v8
	v_dual_add_f32 v20, v20, v146 :: v_dual_add_f32 v143, v30, v56
	v_dual_sub_f32 v130, v35, v33 :: v_dual_add_f32 v149, v38, v30
	v_dual_sub_f32 v138, v36, v30 :: v_dual_fmac_f32 v59, v27, v65
	v_sub_f32_e32 v142, v57, v56
	v_dual_sub_f32 v146, v30, v36 :: v_dual_fmac_f32 v61, v29, v71
	v_add_f32_e32 v148, v36, v57
	v_fma_f32 v27, v27, v64, -v32
	v_fma_f32 v64, v29, v70, -v34
	;; [unrolled: 1-line block ×3, first 2 shown]
	v_mul_f32_e32 v23, v73, v126
	v_fma_f32 v63, v25, v68, -v63
	v_dual_mul_f32 v66, v72, v126 :: v_dual_fmac_f32 v7, 0x3f167918, v55
	v_dual_mul_f32 v68, v78, v122 :: v_dual_fmac_f32 v1, 0xbf167918, v55
	v_mul_f32_e32 v25, v79, v122
	v_dual_fmac_f32 v3, 0xbf167918, v116 :: v_dual_fmac_f32 v6, 0xbf167918, v47
	v_dual_fmamk_f32 v30, v117, 0xbf737871, v13 :: v_dual_add_f32 v55, v40, v121
	v_dual_fmamk_f32 v11, v81, 0x3f737871, v15 :: v_dual_add_f32 v16, v16, v118
	v_fmac_f32_e32 v15, 0xbf737871, v81
	v_fma_f32 v32, -0.5, v127, v132
	v_fma_f32 v34, -0.5, v135, v132
	v_dual_add_f32 v40, v33, v137 :: v_dual_add_f32 v127, v58, v60
	v_dual_sub_f32 v144, v33, v42 :: v_dual_mul_f32 v65, v74, v124
	v_dual_sub_f32 v35, v35, v145 :: v_dual_mul_f32 v70, v77, v128
	v_add_f32_e32 v9, v136, v123
	v_dual_fmac_f32 v5, 0x3f167918, v116 :: v_dual_fmac_f32 v0, 0x3f167918, v47
	v_dual_fmac_f32 v2, 0x3f167918, v141 :: v_dual_sub_f32 v121, v27, v64
	v_dual_add_f32 v8, v8, v10 :: v_dual_fmac_f32 v13, 0x3f737871, v117
	v_dual_fmamk_f32 v29, v139, 0x3f737871, v12 :: v_dual_add_f32 v20, v20, v31
	v_fmac_f32_e32 v12, 0xbf737871, v139
	v_dual_fmamk_f32 v10, v140, 0xbf737871, v14 :: v_dual_sub_f32 v123, v62, v63
	v_dual_fmac_f32 v14, 0x3f737871, v140 :: v_dual_sub_f32 v47, v60, v61
	v_add_f32_e32 v116, v138, v142
	v_fma_f32 v31, -0.5, v143, v38
	v_fma_f32 v33, -0.5, v148, v38
	v_dual_add_f32 v36, v36, v149 :: v_dual_sub_f32 v135, v58, v60
	v_dual_sub_f32 v38, v58, v59 :: v_dual_fmac_f32 v67, v24, v77
	s_wait_dscnt 0x1
	v_dual_add_f32 v128, v59, v133 :: v_dual_fmac_f32 v7, 0x3e9e377a, v48
	v_dual_add_f32 v132, v27, v64 :: v_dual_fmac_f32 v5, 0x3e9e377a, v50
	;; [unrolled: 1-line block ×3, first 2 shown]
	v_dual_fmac_f32 v68, v28, v79 :: v_dual_fmac_f32 v11, 0x3f167918, v117
	v_fma_f32 v72, v26, v72, -v23
	v_fma_f32 v28, v28, v78, -v25
	v_dual_fmac_f32 v6, 0x3e9e377a, v46 :: v_dual_add_f32 v23, v18, v16
	v_dual_fmac_f32 v15, 0xbf167918, v117 :: v_dual_fmac_f32 v10, 0xbf167918, v139
	v_dual_fmamk_f32 v25, v125, 0x3f737871, v34 :: v_dual_add_f32 v16, v42, v40
	v_fma_f32 v40, -0.5, v127, v133
	v_dual_fmac_f32 v4, 0xbf167918, v141 :: v_dual_add_f32 v71, v130, v131
	v_add_f32_e32 v118, v146, v147
	v_dual_add_f32 v122, v59, v61 :: v_dual_sub_f32 v137, v64, v63
	v_dual_sub_f32 v124, v59, v58 :: v_dual_fmac_f32 v65, v22, v75
	v_dual_sub_f32 v126, v61, v60 :: v_dual_add_f32 v141, v39, v27
	v_dual_sub_f32 v130, v62, v27 :: v_dual_fmac_f32 v1, 0x3e9e377a, v48
	v_sub_f32_e32 v131, v63, v64
	v_sub_f32_e32 v59, v59, v61
	v_dual_sub_f32 v136, v27, v62 :: v_dual_fmac_f32 v13, 0xbf167918, v81
	v_dual_fmac_f32 v66, v26, v73 :: v_dual_fmac_f32 v29, 0xbf167918, v140
	v_fma_f32 v69, v22, v74, -v69
	v_fma_f32 v70, v24, v76, -v70
	v_fmac_f32_e32 v0, 0x3e9e377a, v46
	v_dual_add_f32 v22, v20, v37 :: v_dual_fmamk_f32 v27, v129, 0xbf737871, v32
	v_fmac_f32_e32 v32, 0x3f737871, v129
	v_fmac_f32_e32 v34, 0xbf737871, v125
	v_fmamk_f32 v24, v35, 0xbf737871, v33
	v_dual_fmac_f32 v33, 0x3f737871, v35 :: v_dual_add_f32 v18, v36, v57
	v_fmac_f32_e32 v15, 0x3e9e377a, v115
	v_fmamk_f32 v26, v144, 0x3f737871, v31
	v_fmac_f32_e32 v31, 0xbf737871, v144
	v_fmac_f32_e32 v30, 0x3f167918, v81
	v_dual_add_f32 v20, v38, v47 :: v_dual_fmac_f32 v33, 0x3f167918, v144
	v_dual_add_f32 v46, v58, v128 :: v_dual_fmamk_f32 v47, v121, 0x3f737871, v40
	v_fma_f32 v37, -0.5, v132, v39
	v_fma_f32 v39, -0.5, v138, v39
	v_dual_fmac_f32 v4, 0x3e9e377a, v80 :: v_dual_fmac_f32 v13, 0x3e9e377a, v41
	v_dual_fmac_f32 v12, 0x3f167918, v140 :: v_dual_fmac_f32 v27, 0x3f167918, v125
	v_dual_add_f32 v48, v124, v126 :: v_dual_fmac_f32 v29, 0x3e9e377a, v119
	v_add_f32_e32 v50, v130, v131
	v_add_f32_e32 v58, v62, v141
	;; [unrolled: 1-line block ×3, first 2 shown]
	v_dual_add_f32 v36, v145, v16 :: v_dual_fmac_f32 v47, 0x3f167918, v123
	v_fmac_f32_e32 v31, 0x3f167918, v35
	v_dual_fmac_f32 v30, 0x3e9e377a, v41 :: v_dual_fmac_f32 v27, 0x3e9e377a, v55
	v_fmac_f32_e32 v40, 0xbf737871, v121
	v_fmamk_f32 v41, v135, 0x3f737871, v37
	v_dual_fmac_f32 v37, 0xbf737871, v135 :: v_dual_add_f32 v16, v60, v46
	v_fmamk_f32 v46, v59, 0xbf737871, v39
	v_fmac_f32_e32 v39, 0x3f737871, v59
	v_add_f32_e32 v57, v136, v137
	v_dual_fmac_f32 v32, 0xbf167918, v125 :: v_dual_fmac_f32 v41, 0xbf167918, v59
	v_dual_fmac_f32 v26, 0xbf167918, v35 :: v_dual_add_f32 v35, v18, v56
	v_dual_add_f32 v18, v58, v63 :: v_dual_fmac_f32 v47, 0x3e9e377a, v48
	v_fmac_f32_e32 v34, 0xbf167918, v129
	v_fmac_f32_e32 v40, 0xbf167918, v123
	v_dual_fmac_f32 v37, 0x3f167918, v59 :: v_dual_add_f32 v58, v61, v16
	v_fmac_f32_e32 v39, 0x3f167918, v135
	v_fmac_f32_e32 v46, 0xbf167918, v135
	v_dual_fmac_f32 v32, 0x3e9e377a, v55 :: v_dual_fmac_f32 v41, 0x3e9e377a, v50
	s_delay_alu instid0(VALU_DEP_3) | instskip(NEXT) | instid1(VALU_DEP_3)
	v_dual_fmac_f32 v40, 0x3e9e377a, v48 :: v_dual_fmac_f32 v39, 0x3e9e377a, v57
	v_dual_fmac_f32 v37, 0x3e9e377a, v50 :: v_dual_fmac_f32 v46, 0x3e9e377a, v57
	v_dual_add_f32 v50, v65, v67 :: v_dual_add_f32 v57, v18, v64
	v_fmac_f32_e32 v34, 0x3e9e377a, v71
	s_wait_dscnt 0x0
	v_fma_f32 v56, -0.5, v62, v134
	v_sub_f32_e32 v55, v72, v28
	v_fma_f32 v62, -0.5, v50, v134
	v_fma_f32 v38, -0.5, v122, v133
	v_sub_f32_e32 v16, v69, v70
	v_add_f32_e32 v50, v66, v134
	v_sub_f32_e32 v48, v67, v68
	v_fmamk_f32 v64, v55, 0x3f737871, v62
	v_fmac_f32_e32 v62, 0xbf737871, v55
	v_fmamk_f32 v60, v16, 0xbf737871, v56
	v_fmac_f32_e32 v56, 0x3f737871, v16
	v_mad_co_u64_u32 v[73:74], null, s8, v103, 0
	v_fmac_f32_e32 v64, 0x3f167918, v16
	v_fmac_f32_e32 v62, 0xbf167918, v16
	v_add_f32_e32 v16, v65, v50
	v_sub_f32_e32 v50, v65, v67
	v_fmamk_f32 v42, v123, 0xbf737871, v38
	v_fmac_f32_e32 v38, 0x3f737871, v123
	v_fmac_f32_e32 v60, 0x3f167918, v55
	v_add_f32_e32 v16, v67, v16
	v_dual_fmac_f32 v14, 0x3f167918, v139 :: v_dual_fmac_f32 v25, 0x3f167918, v129
	v_fmac_f32_e32 v42, 0x3f167918, v121
	v_fmac_f32_e32 v38, 0xbf167918, v121
	;; [unrolled: 1-line block ×3, first 2 shown]
	s_delay_alu instid0(VALU_DEP_4) | instskip(NEXT) | instid1(VALU_DEP_4)
	v_dual_fmac_f32 v14, 0x3e9e377a, v120 :: v_dual_fmac_f32 v33, 0x3e9e377a, v118
	v_fmac_f32_e32 v42, 0x3e9e377a, v20
	s_delay_alu instid0(VALU_DEP_4) | instskip(SKIP_3) | instid1(VALU_DEP_3)
	v_fmac_f32_e32 v38, 0x3e9e377a, v20
	v_dual_sub_f32 v20, v65, v66 :: v_dual_fmac_f32 v25, 0x3e9e377a, v71
	v_dual_fmac_f32 v12, 0x3e9e377a, v119 :: v_dual_fmac_f32 v31, 0x3e9e377a, v116
	v_dual_fmac_f32 v2, 0x3e9e377a, v80 :: v_dual_fmac_f32 v11, 0x3e9e377a, v115
	v_add_f32_e32 v18, v20, v48
	v_sub_f32_e32 v20, v66, v65
	v_sub_f32_e32 v48, v68, v67
	v_dual_sub_f32 v66, v66, v68 :: v_dual_sub_f32 v67, v28, v70
	s_delay_alu instid0(VALU_DEP_4) | instskip(NEXT) | instid1(VALU_DEP_3)
	v_fmac_f32_e32 v60, 0x3e9e377a, v18
	v_add_f32_e32 v20, v20, v48
	v_sub_f32_e32 v48, v69, v72
	s_delay_alu instid0(VALU_DEP_2) | instskip(SKIP_4) | instid1(VALU_DEP_1)
	v_fmac_f32_e32 v64, 0x3e9e377a, v20
	v_fmac_f32_e32 v62, 0x3e9e377a, v20
	v_add_nc_u32_e32 v20, v105, v104
	ds_load_b32 v65, v20
	v_sub_f32_e32 v20, v70, v28
	v_add_f32_e32 v48, v48, v20
	v_add_f32_e32 v20, v68, v16
	s_wait_loadcnt 0x1
	v_mul_f32_e32 v68, v108, v49
	s_wait_loadcnt 0x0
	v_mul_f32_e32 v16, v112, v51
	v_mul_f32_e32 v51, v113, v51
	;; [unrolled: 1-line block ×3, first 2 shown]
	v_fmac_f32_e32 v68, v17, v109
	v_fmac_f32_e32 v56, 0xbf167918, v55
	v_fmac_f32_e32 v16, v21, v113
	v_fma_f32 v21, v21, v112, -v51
	v_fma_f32 v75, v17, v108, -v49
	s_delay_alu instid0(VALU_DEP_4) | instskip(SKIP_1) | instid1(VALU_DEP_1)
	v_fmac_f32_e32 v56, 0x3e9e377a, v18
	v_add_f32_e32 v18, v72, v28
	v_fma_f32 v55, -0.5, v18, v54
	s_delay_alu instid0(VALU_DEP_1) | instskip(NEXT) | instid1(VALU_DEP_1)
	v_dual_add_f32 v18, v69, v70 :: v_dual_fmamk_f32 v59, v50, 0x3f737871, v55
	v_fma_f32 v61, -0.5, v18, v54
	v_dual_sub_f32 v18, v72, v69 :: v_dual_fmac_f32 v55, 0xbf737871, v50
	s_delay_alu instid0(VALU_DEP_3) | instskip(NEXT) | instid1(VALU_DEP_3)
	v_dual_fmac_f32 v24, 0xbf167918, v144 :: v_dual_fmac_f32 v59, 0xbf167918, v66
	v_fmamk_f32 v63, v66, 0xbf737871, v61
	s_delay_alu instid0(VALU_DEP_3)
	v_dual_add_f32 v18, v18, v67 :: v_dual_fmac_f32 v61, 0x3f737871, v66
	s_wait_dscnt 0x0
	v_mul_f32_e32 v67, v110, v65
	v_fmac_f32_e32 v55, 0x3f167918, v66
	v_fmac_f32_e32 v63, 0xbf167918, v50
	v_dual_fmac_f32 v24, 0x3e9e377a, v118 :: v_dual_fmac_f32 v59, 0x3e9e377a, v48
	v_fmac_f32_e32 v61, 0x3f167918, v50
	v_fmac_f32_e32 v67, v53, v111
	v_mul_f32_e32 v50, v106, v43
	v_mul_f32_e32 v43, v107, v43
	v_fmac_f32_e32 v55, 0x3e9e377a, v48
	v_add_f32_e32 v48, v54, v72
	v_mul_f32_e32 v54, v111, v65
	v_add_f32_e32 v65, v67, v68
	v_fma_f32 v43, v19, v106, -v43
	v_fmac_f32_e32 v50, v19, v107
	v_dual_fmac_f32 v26, 0x3e9e377a, v116 :: v_dual_fmac_f32 v63, 0x3e9e377a, v18
	v_fma_f32 v71, v53, v110, -v54
	v_fma_f32 v49, -0.5, v65, v114
	v_sub_f32_e32 v17, v21, v43
	v_dual_add_f32 v19, v69, v48 :: v_dual_sub_f32 v48, v16, v67
	v_sub_f32_e32 v53, v50, v68
	v_fmac_f32_e32 v61, 0x3e9e377a, v18
	v_dual_add_f32 v18, v16, v50 :: v_dual_sub_f32 v65, v71, v75
	v_fmamk_f32 v51, v17, 0xbf737871, v49
	s_delay_alu instid0(VALU_DEP_4) | instskip(SKIP_1) | instid1(VALU_DEP_4)
	v_dual_add_f32 v19, v19, v70 :: v_dual_add_f32 v48, v48, v53
	v_fmac_f32_e32 v49, 0x3f737871, v17
	v_fma_f32 v54, -0.5, v18, v114
	v_dual_sub_f32 v18, v67, v16 :: v_dual_sub_f32 v53, v68, v50
	v_fmac_f32_e32 v51, 0x3f167918, v65
	s_delay_alu instid0(VALU_DEP_3) | instskip(SKIP_1) | instid1(VALU_DEP_4)
	v_dual_add_f32 v19, v19, v28 :: v_dual_fmamk_f32 v66, v65, 0x3f737871, v54
	v_fmac_f32_e32 v49, 0xbf167918, v65
	v_add_f32_e32 v18, v18, v53
	v_fmac_f32_e32 v54, 0xbf737871, v65
	v_add_f32_e32 v28, v67, v114
	v_add_f32_e32 v53, v71, v75
	v_fmac_f32_e32 v51, 0x3e9e377a, v48
	v_fmac_f32_e32 v66, 0x3f167918, v17
	;; [unrolled: 1-line block ×3, first 2 shown]
	v_dual_fmac_f32 v54, 0xbf167918, v17 :: v_dual_add_f32 v17, v16, v28
	v_fma_f32 v48, -0.5, v53, v52
	v_sub_f32_e32 v28, v16, v50
	v_fmac_f32_e32 v66, 0x3e9e377a, v18
	s_delay_alu instid0(VALU_DEP_4)
	v_fmac_f32_e32 v54, 0x3e9e377a, v18
	v_dual_add_f32 v16, v50, v17 :: v_dual_sub_f32 v17, v21, v71
	v_sub_f32_e32 v18, v43, v75
	v_dual_fmamk_f32 v50, v28, 0x3f737871, v48 :: v_dual_sub_f32 v67, v67, v68
	v_fmac_f32_e32 v48, 0xbf737871, v28
	v_mad_co_u64_u32 v[69:70], null, s8, v101, 0
	v_add_f32_e32 v68, v68, v16
	v_add_f32_e32 v16, v17, v18
	v_fmac_f32_e32 v50, 0xbf167918, v67
	v_fmac_f32_e32 v48, 0x3f167918, v67
	v_add_f32_e32 v53, v21, v43
	v_sub_f32_e32 v17, v71, v21
	v_sub_f32_e32 v18, v75, v43
	v_fmac_f32_e32 v50, 0x3e9e377a, v16
	v_fmac_f32_e32 v48, 0x3e9e377a, v16
	v_mov_b32_e32 v16, v70
	v_fma_f32 v53, -0.5, v53, v52
	v_dual_add_f32 v52, v52, v71 :: v_dual_add_f32 v77, v17, v18
	v_mad_co_u64_u32 v[71:72], null, s8, v100, 0
	s_delay_alu instid0(VALU_DEP_4) | instskip(NEXT) | instid1(VALU_DEP_3)
	v_mad_co_u64_u32 v[16:17], null, s9, v101, v[16:17]
	v_dual_add_f32 v18, v21, v52 :: v_dual_mov_b32 v21, v74
	v_fmamk_f32 v65, v67, 0xbf737871, v53
	v_fmac_f32_e32 v53, 0x3f737871, v67
	s_delay_alu instid0(VALU_DEP_3) | instskip(SKIP_2) | instid1(VALU_DEP_3)
	v_dual_add_f32 v17, v18, v43 :: v_dual_mov_b32 v70, v16
	v_mov_b32_e32 v18, v72
	v_add_co_u32 v16, vcc_lo, s10, v44
	v_add_f32_e32 v67, v17, v75
	v_mad_co_u64_u32 v[74:75], null, s9, v103, v[21:22]
	v_mad_co_u64_u32 v[75:76], null, s8, v102, 0
	v_lshlrev_b64_e32 v[43:44], 3, v[69:70]
	v_mad_co_u64_u32 v[69:70], null, s9, v100, v[18:19]
	s_wait_alu 0xfffd
	v_add_co_ci_u32_e32 v17, vcc_lo, s11, v45, vcc_lo
	v_fmac_f32_e32 v65, 0xbf167918, v28
	s_delay_alu instid0(VALU_DEP_4) | instskip(SKIP_4) | instid1(VALU_DEP_3)
	v_add_co_u32 v43, vcc_lo, v16, v43
	v_mov_b32_e32 v18, v76
	s_wait_alu 0xfffd
	v_add_co_ci_u32_e32 v44, vcc_lo, v17, v44, vcc_lo
	v_dual_mov_b32 v72, v69 :: v_dual_fmac_f32 v53, 0x3f167918, v28
	v_mad_co_u64_u32 v[69:70], null, s9, v102, v[18:19]
	global_store_b64 v[43:44], v[67:68], off
	v_lshlrev_b64_e32 v[43:44], 3, v[71:72]
	v_mad_co_u64_u32 v[70:71], null, s8, v99, 0
	v_lshlrev_b64_e32 v[67:68], 3, v[73:74]
	v_mad_co_u64_u32 v[72:73], null, s8, v97, 0
	v_dual_mov_b32 v76, v69 :: v_dual_fmac_f32 v65, 0x3e9e377a, v77
	s_delay_alu instid0(VALU_DEP_4) | instskip(SKIP_1) | instid1(VALU_DEP_4)
	v_dual_fmac_f32 v53, 0x3e9e377a, v77 :: v_dual_mov_b32 v18, v71
	v_add_co_u32 v43, vcc_lo, v16, v43
	v_mov_b32_e32 v21, v73
	s_delay_alu instid0(VALU_DEP_4) | instskip(NEXT) | instid1(VALU_DEP_4)
	v_lshlrev_b64_e32 v[73:74], 3, v[75:76]
	v_mad_co_u64_u32 v[75:76], null, s9, v99, v[18:19]
	s_wait_alu 0xfffd
	v_add_co_ci_u32_e32 v44, vcc_lo, v17, v44, vcc_lo
	v_mad_co_u64_u32 v[76:77], null, s9, v97, v[21:22]
	v_mad_co_u64_u32 v[77:78], null, s8, v98, 0
	v_add_co_u32 v67, vcc_lo, v16, v67
	s_wait_alu 0xfffd
	v_add_co_ci_u32_e32 v68, vcc_lo, v17, v68, vcc_lo
	v_add_co_u32 v73, vcc_lo, v16, v73
	s_delay_alu instid0(VALU_DEP_4)
	v_mov_b32_e32 v18, v78
	s_wait_alu 0xfffd
	v_add_co_ci_u32_e32 v74, vcc_lo, v17, v74, vcc_lo
	s_clause 0x1
	global_store_b64 v[43:44], v[53:54], off
	global_store_b64 v[67:68], v[48:49], off
	v_mov_b32_e32 v71, v75
	v_mad_co_u64_u32 v[48:49], null, s9, v98, v[18:19]
	global_store_b64 v[73:74], v[50:51], off
	v_mad_co_u64_u32 v[49:50], null, s8, v95, 0
	v_mov_b32_e32 v73, v76
	v_mad_co_u64_u32 v[53:54], null, s8, v96, 0
	v_lshlrev_b64_e32 v[43:44], 3, v[70:71]
	v_mov_b32_e32 v78, v48
	v_mad_co_u64_u32 v[67:68], null, s8, v94, 0
	v_mov_b32_e32 v18, v50
	v_lshlrev_b64_e32 v[51:52], 3, v[72:73]
	v_add_co_u32 v43, vcc_lo, v16, v43
	v_mov_b32_e32 v21, v54
	v_lshlrev_b64_e32 v[69:70], 3, v[77:78]
	v_mad_co_u64_u32 v[71:72], null, s9, v95, v[18:19]
	s_wait_alu 0xfffd
	v_add_co_ci_u32_e32 v44, vcc_lo, v17, v44, vcc_lo
	v_add_co_u32 v51, vcc_lo, v16, v51
	v_mov_b32_e32 v18, v68
	s_wait_alu 0xfffd
	v_add_co_ci_u32_e32 v52, vcc_lo, v17, v52, vcc_lo
	v_mad_co_u64_u32 v[72:73], null, s9, v96, v[21:22]
	v_add_co_u32 v68, vcc_lo, v16, v69
	v_mad_co_u64_u32 v[73:74], null, s8, v92, 0
	s_wait_alu 0xfffd
	v_add_co_ci_u32_e32 v69, vcc_lo, v17, v70, vcc_lo
	v_mov_b32_e32 v50, v71
	v_mad_co_u64_u32 v[70:71], null, s9, v94, v[18:19]
	v_mov_b32_e32 v54, v72
	s_clause 0x1
	global_store_b64 v[43:44], v[65:66], off
	global_store_b64 v[51:52], v[19:20], off
	v_lshlrev_b64_e32 v[18:19], 3, v[49:50]
	v_mov_b32_e32 v28, v74
	global_store_b64 v[68:69], v[61:62], off
	v_lshlrev_b64_e32 v[20:21], 3, v[53:54]
	v_mov_b32_e32 v68, v70
	v_mad_co_u64_u32 v[51:52], null, s8, v91, 0
	v_mad_co_u64_u32 v[48:49], null, s9, v92, v[28:29]
	v_add_co_u32 v18, vcc_lo, v16, v18
	s_delay_alu instid0(VALU_DEP_4)
	v_lshlrev_b64_e32 v[43:44], 3, v[67:68]
	s_wait_alu 0xfffd
	v_add_co_ci_u32_e32 v19, vcc_lo, v17, v19, vcc_lo
	v_add_co_u32 v20, vcc_lo, v16, v20
	s_wait_alu 0xfffd
	v_add_co_ci_u32_e32 v21, vcc_lo, v17, v21, vcc_lo
	v_mad_co_u64_u32 v[49:50], null, s8, v93, 0
	v_add_co_u32 v43, vcc_lo, v16, v43
	v_mov_b32_e32 v74, v48
	s_wait_alu 0xfffd
	v_add_co_ci_u32_e32 v44, vcc_lo, v17, v44, vcc_lo
	s_clause 0x2
	global_store_b64 v[18:19], v[55:56], off
	global_store_b64 v[20:21], v[59:60], off
	;; [unrolled: 1-line block ×3, first 2 shown]
	v_lshlrev_b64_e32 v[19:20], 3, v[73:74]
	v_mov_b32_e32 v18, v50
	v_mad_co_u64_u32 v[53:54], null, s8, v90, 0
	v_mul_hi_u32 v28, 0x57619f1, v83
	s_delay_alu instid0(VALU_DEP_3)
	v_mad_co_u64_u32 v[43:44], null, s9, v93, v[18:19]
	v_mov_b32_e32 v18, v52
	v_add_co_u32 v19, vcc_lo, v16, v19
	v_mad_co_u64_u32 v[44:45], null, s8, v89, 0
	s_wait_alu 0xfffd
	v_add_co_ci_u32_e32 v20, vcc_lo, v17, v20, vcc_lo
	s_delay_alu instid0(VALU_DEP_3)
	v_mad_co_u64_u32 v[55:56], null, s9, v91, v[18:19]
	v_mov_b32_e32 v50, v43
	global_store_b64 v[19:20], v[57:58], off
	v_dual_mov_b32 v18, v45 :: v_dual_mov_b32 v19, v54
	v_lshlrev_b64_e32 v[20:21], 3, v[49:50]
	v_mov_b32_e32 v52, v55
	v_mad_co_u64_u32 v[55:56], null, s8, v87, 0
	s_delay_alu instid0(VALU_DEP_4) | instskip(NEXT) | instid1(VALU_DEP_4)
	v_mad_co_u64_u32 v[48:49], null, s9, v89, v[18:19]
	v_mad_co_u64_u32 v[18:19], null, s9, v90, v[19:20]
	s_delay_alu instid0(VALU_DEP_4) | instskip(SKIP_2) | instid1(VALU_DEP_4)
	v_lshlrev_b64_e32 v[49:50], 3, v[51:52]
	v_mad_co_u64_u32 v[51:52], null, s8, v86, 0
	v_add_co_u32 v19, vcc_lo, v16, v20
	v_dual_mov_b32 v45, v48 :: v_dual_mov_b32 v54, v18
	s_wait_alu 0xfffd
	v_add_co_ci_u32_e32 v20, vcc_lo, v17, v21, vcc_lo
	s_delay_alu instid0(VALU_DEP_4) | instskip(NEXT) | instid1(VALU_DEP_3)
	v_mov_b32_e32 v18, v52
	v_lshlrev_b64_e32 v[43:44], 3, v[44:45]
	v_add_co_u32 v48, vcc_lo, v16, v49
	v_lshlrev_b64_e32 v[53:54], 3, v[53:54]
	s_delay_alu instid0(VALU_DEP_4) | instskip(SKIP_4) | instid1(VALU_DEP_3)
	v_mad_co_u64_u32 v[57:58], null, s9, v86, v[18:19]
	v_mov_b32_e32 v18, v56
	s_wait_alu 0xfffd
	v_add_co_ci_u32_e32 v49, vcc_lo, v17, v50, vcc_lo
	v_add_co_u32 v43, vcc_lo, v16, v43
	v_mad_co_u64_u32 v[58:59], null, s9, v87, v[18:19]
	v_mad_co_u64_u32 v[59:60], null, s8, v88, 0
	s_wait_alu 0xfffd
	v_add_co_ci_u32_e32 v44, vcc_lo, v17, v44, vcc_lo
	v_add_co_u32 v53, vcc_lo, v16, v53
	s_wait_alu 0xfffd
	v_add_co_ci_u32_e32 v54, vcc_lo, v17, v54, vcc_lo
	v_mov_b32_e32 v52, v57
	s_clause 0x3
	global_store_b64 v[19:20], v[39:40], off
	global_store_b64 v[48:49], v[37:38], off
	;; [unrolled: 1-line block ×4, first 2 shown]
	v_mov_b32_e32 v20, v60
	v_mov_b32_e32 v56, v58
	v_mad_co_u64_u32 v[37:38], null, s8, v84, 0
	v_lshlrev_b64_e32 v[18:19], 3, v[51:52]
	s_delay_alu instid0(VALU_DEP_4) | instskip(NEXT) | instid1(VALU_DEP_4)
	v_mad_co_u64_u32 v[20:21], null, s9, v88, v[20:21]
	v_lshlrev_b64_e32 v[39:40], 3, v[55:56]
	v_mad_co_u64_u32 v[41:42], null, s8, v85, 0
	s_delay_alu instid0(VALU_DEP_4)
	v_add_co_u32 v18, vcc_lo, v16, v18
	s_wait_alu 0xfffd
	v_add_co_ci_u32_e32 v19, vcc_lo, v17, v19, vcc_lo
	v_mov_b32_e32 v21, v38
	v_add_co_u32 v38, vcc_lo, v16, v39
	v_mov_b32_e32 v60, v20
	s_wait_alu 0xfffd
	v_add_co_ci_u32_e32 v39, vcc_lo, v17, v40, vcc_lo
	v_mad_co_u64_u32 v[43:44], null, s9, v84, v[21:22]
	s_clause 0x1
	global_store_b64 v[18:19], v[35:36], off
	global_store_b64 v[38:39], v[33:34], off
	v_lshlrev_b64_e32 v[19:20], 3, v[59:60]
	v_mov_b32_e32 v18, v42
	v_lshrrev_b32_e32 v21, 4, v28
	v_mov_b32_e32 v38, v43
	s_delay_alu instid0(VALU_DEP_3) | instskip(NEXT) | instid1(VALU_DEP_3)
	v_mad_co_u64_u32 v[33:34], null, s9, v85, v[18:19]
	v_mad_u32_u24 v44, 0xbb8, v21, v83
	v_add_co_u32 v18, vcc_lo, v16, v19
	s_wait_alu 0xfffd
	v_add_co_ci_u32_e32 v19, vcc_lo, v17, v20, vcc_lo
	s_delay_alu instid0(VALU_DEP_3) | instskip(SKIP_3) | instid1(VALU_DEP_4)
	v_add_nc_u32_e32 v43, 0x2ee, v44
	v_lshlrev_b64_e32 v[20:21], 3, v[37:38]
	v_mov_b32_e32 v42, v33
	v_mad_co_u64_u32 v[34:35], null, s8, v44, 0
	v_mad_co_u64_u32 v[36:37], null, s8, v43, 0
	s_delay_alu instid0(VALU_DEP_4) | instskip(NEXT) | instid1(VALU_DEP_4)
	v_add_co_u32 v20, vcc_lo, v16, v20
	v_lshlrev_b64_e32 v[38:39], 3, v[41:42]
	s_wait_alu 0xfffd
	v_add_co_ci_u32_e32 v21, vcc_lo, v17, v21, vcc_lo
	s_clause 0x1
	global_store_b64 v[18:19], v[31:32], off
	global_store_b64 v[20:21], v[26:27], off
	v_mov_b32_e32 v18, v37
	v_add_co_u32 v19, vcc_lo, v16, v38
	v_mov_b32_e32 v28, v35
	s_wait_alu 0xfffd
	v_add_co_ci_u32_e32 v20, vcc_lo, v17, v39, vcc_lo
	s_delay_alu instid0(VALU_DEP_3) | instskip(NEXT) | instid1(VALU_DEP_3)
	v_mad_co_u64_u32 v[26:27], null, s9, v43, v[18:19]
	v_mad_co_u64_u32 v[40:41], null, s9, v44, v[28:29]
	v_add_nc_u32_e32 v28, 0x5dc, v44
	v_add_nc_u32_e32 v33, 0x8ca, v44
	global_store_b64 v[19:20], v[24:25], off
	v_mov_b32_e32 v37, v26
	v_mad_co_u64_u32 v[20:21], null, s8, v28, 0
	v_mov_b32_e32 v35, v40
	v_mad_co_u64_u32 v[24:25], null, s8, v33, 0
	s_delay_alu instid0(VALU_DEP_4) | instskip(NEXT) | instid1(VALU_DEP_3)
	v_lshlrev_b64_e32 v[26:27], 3, v[36:37]
	v_lshlrev_b64_e32 v[18:19], 3, v[34:35]
	v_mad_co_u64_u32 v[31:32], null, s9, v28, v[21:22]
	v_add_nc_u32_e32 v35, 0xbb8, v44
	s_delay_alu instid0(VALU_DEP_4) | instskip(NEXT) | instid1(VALU_DEP_4)
	v_mad_co_u64_u32 v[32:33], null, s9, v33, v[25:26]
	v_add_co_u32 v18, vcc_lo, v16, v18
	s_wait_alu 0xfffd
	v_add_co_ci_u32_e32 v19, vcc_lo, v17, v19, vcc_lo
	v_mad_co_u64_u32 v[33:34], null, s8, v35, 0
	v_add_co_u32 v26, vcc_lo, v16, v26
	s_wait_alu 0xfffd
	v_add_co_ci_u32_e32 v27, vcc_lo, v17, v27, vcc_lo
	v_mov_b32_e32 v21, v31
	v_mov_b32_e32 v25, v32
	v_mul_hi_u32 v28, 0x57619f1, v82
	s_clause 0x1
	global_store_b64 v[18:19], v[22:23], off
	global_store_b64 v[26:27], v[14:15], off
	v_lshlrev_b64_e32 v[14:15], 3, v[20:21]
	v_lshlrev_b64_e32 v[19:20], 3, v[24:25]
	v_mov_b32_e32 v18, v34
	s_delay_alu instid0(VALU_DEP_3) | instskip(NEXT) | instid1(VALU_DEP_2)
	v_add_co_u32 v14, vcc_lo, v16, v14
	v_mad_co_u64_u32 v[21:22], null, s9, v35, v[18:19]
	v_lshrrev_b32_e32 v18, 4, v28
	s_wait_alu 0xfffd
	v_add_co_ci_u32_e32 v15, vcc_lo, v17, v15, vcc_lo
	s_delay_alu instid0(VALU_DEP_2)
	v_mad_u32_u24 v27, 0xbb8, v18, v82
	v_add_co_u32 v18, vcc_lo, v16, v19
	s_wait_alu 0xfffd
	v_add_co_ci_u32_e32 v19, vcc_lo, v17, v20, vcc_lo
	v_mov_b32_e32 v34, v21
	v_mad_co_u64_u32 v[20:21], null, s8, v27, 0
	v_add_nc_u32_e32 v24, 0x2ee, v27
	s_clause 0x1
	global_store_b64 v[14:15], v[12:13], off
	global_store_b64 v[18:19], v[29:30], off
	v_add_nc_u32_e32 v28, 0x5dc, v27
	v_lshlrev_b64_e32 v[12:13], 3, v[33:34]
	v_mad_co_u64_u32 v[14:15], null, s8, v24, 0
	v_dual_mov_b32 v18, v21 :: v_dual_add_nc_u32 v29, 0x8ca, v27
	s_delay_alu instid0(VALU_DEP_4) | instskip(NEXT) | instid1(VALU_DEP_4)
	v_mad_co_u64_u32 v[22:23], null, s8, v28, 0
	v_add_co_u32 v12, vcc_lo, v16, v12
	s_delay_alu instid0(VALU_DEP_3)
	v_mad_co_u64_u32 v[18:19], null, s9, v27, v[18:19]
	v_mad_co_u64_u32 v[24:25], null, s9, v24, v[15:16]
	;; [unrolled: 1-line block ×3, first 2 shown]
	v_add_nc_u32_e32 v30, 0xbb8, v27
	s_wait_alu 0xfffd
	v_add_co_ci_u32_e32 v13, vcc_lo, v17, v13, vcc_lo
	v_mov_b32_e32 v21, v18
	v_mov_b32_e32 v15, v23
	v_mad_co_u64_u32 v[18:19], null, s8, v30, 0
	global_store_b64 v[12:13], v[10:11], off
	v_lshlrev_b64_e32 v[11:12], 3, v[20:21]
	v_mov_b32_e32 v10, v26
	v_mad_co_u64_u32 v[27:28], null, s9, v28, v[15:16]
	v_mov_b32_e32 v15, v24
	s_delay_alu instid0(VALU_DEP_3)
	v_mad_co_u64_u32 v[20:21], null, s9, v29, v[10:11]
	v_mov_b32_e32 v10, v19
	v_add_co_u32 v11, vcc_lo, v16, v11
	v_mov_b32_e32 v23, v27
	v_lshlrev_b64_e32 v[13:14], 3, v[14:15]
	s_wait_alu 0xfffd
	v_add_co_ci_u32_e32 v12, vcc_lo, v17, v12, vcc_lo
	v_mad_co_u64_u32 v[27:28], null, s9, v30, v[10:11]
	v_mov_b32_e32 v26, v20
	v_lshlrev_b64_e32 v[21:22], 3, v[22:23]
	v_add_co_u32 v13, vcc_lo, v16, v13
	s_wait_alu 0xfffd
	v_add_co_ci_u32_e32 v14, vcc_lo, v17, v14, vcc_lo
	v_mov_b32_e32 v19, v27
	v_lshlrev_b64_e32 v[23:24], 3, v[25:26]
	v_add_co_u32 v20, vcc_lo, v16, v21
	s_wait_alu 0xfffd
	v_add_co_ci_u32_e32 v21, vcc_lo, v17, v22, vcc_lo
	v_lshlrev_b64_e32 v[18:19], 3, v[18:19]
	s_delay_alu instid0(VALU_DEP_4) | instskip(SKIP_2) | instid1(VALU_DEP_3)
	v_add_co_u32 v22, vcc_lo, v16, v23
	s_wait_alu 0xfffd
	v_add_co_ci_u32_e32 v23, vcc_lo, v17, v24, vcc_lo
	v_add_co_u32 v15, vcc_lo, v16, v18
	s_wait_alu 0xfffd
	v_add_co_ci_u32_e32 v16, vcc_lo, v17, v19, vcc_lo
	s_clause 0x4
	global_store_b64 v[11:12], v[8:9], off
	global_store_b64 v[13:14], v[2:3], off
	;; [unrolled: 1-line block ×5, first 2 shown]
.LBB0_15:
	s_nop 0
	s_sendmsg sendmsg(MSG_DEALLOC_VGPRS)
	s_endpgm
	.section	.rodata,"a",@progbits
	.p2align	6, 0x0
	.amdhsa_kernel fft_rtc_fwd_len3750_factors_3_5_5_10_5_wgs_125_tpt_125_halfLds_sp_ip_CI_sbrr_dirReg
		.amdhsa_group_segment_fixed_size 0
		.amdhsa_private_segment_fixed_size 0
		.amdhsa_kernarg_size 88
		.amdhsa_user_sgpr_count 2
		.amdhsa_user_sgpr_dispatch_ptr 0
		.amdhsa_user_sgpr_queue_ptr 0
		.amdhsa_user_sgpr_kernarg_segment_ptr 1
		.amdhsa_user_sgpr_dispatch_id 0
		.amdhsa_user_sgpr_private_segment_size 0
		.amdhsa_wavefront_size32 1
		.amdhsa_uses_dynamic_stack 0
		.amdhsa_enable_private_segment 0
		.amdhsa_system_sgpr_workgroup_id_x 1
		.amdhsa_system_sgpr_workgroup_id_y 0
		.amdhsa_system_sgpr_workgroup_id_z 0
		.amdhsa_system_sgpr_workgroup_info 0
		.amdhsa_system_vgpr_workitem_id 0
		.amdhsa_next_free_vgpr 192
		.amdhsa_next_free_sgpr 35
		.amdhsa_reserve_vcc 1
		.amdhsa_float_round_mode_32 0
		.amdhsa_float_round_mode_16_64 0
		.amdhsa_float_denorm_mode_32 3
		.amdhsa_float_denorm_mode_16_64 3
		.amdhsa_fp16_overflow 0
		.amdhsa_workgroup_processor_mode 1
		.amdhsa_memory_ordered 1
		.amdhsa_forward_progress 0
		.amdhsa_round_robin_scheduling 0
		.amdhsa_exception_fp_ieee_invalid_op 0
		.amdhsa_exception_fp_denorm_src 0
		.amdhsa_exception_fp_ieee_div_zero 0
		.amdhsa_exception_fp_ieee_overflow 0
		.amdhsa_exception_fp_ieee_underflow 0
		.amdhsa_exception_fp_ieee_inexact 0
		.amdhsa_exception_int_div_zero 0
	.end_amdhsa_kernel
	.text
.Lfunc_end0:
	.size	fft_rtc_fwd_len3750_factors_3_5_5_10_5_wgs_125_tpt_125_halfLds_sp_ip_CI_sbrr_dirReg, .Lfunc_end0-fft_rtc_fwd_len3750_factors_3_5_5_10_5_wgs_125_tpt_125_halfLds_sp_ip_CI_sbrr_dirReg
                                        ; -- End function
	.section	.AMDGPU.csdata,"",@progbits
; Kernel info:
; codeLenInByte = 23384
; NumSgprs: 37
; NumVgprs: 192
; ScratchSize: 0
; MemoryBound: 0
; FloatMode: 240
; IeeeMode: 1
; LDSByteSize: 0 bytes/workgroup (compile time only)
; SGPRBlocks: 4
; VGPRBlocks: 23
; NumSGPRsForWavesPerEU: 37
; NumVGPRsForWavesPerEU: 192
; Occupancy: 8
; WaveLimiterHint : 1
; COMPUTE_PGM_RSRC2:SCRATCH_EN: 0
; COMPUTE_PGM_RSRC2:USER_SGPR: 2
; COMPUTE_PGM_RSRC2:TRAP_HANDLER: 0
; COMPUTE_PGM_RSRC2:TGID_X_EN: 1
; COMPUTE_PGM_RSRC2:TGID_Y_EN: 0
; COMPUTE_PGM_RSRC2:TGID_Z_EN: 0
; COMPUTE_PGM_RSRC2:TIDIG_COMP_CNT: 0
	.text
	.p2alignl 7, 3214868480
	.fill 96, 4, 3214868480
	.type	__hip_cuid_db1fe71d524fe51,@object ; @__hip_cuid_db1fe71d524fe51
	.section	.bss,"aw",@nobits
	.globl	__hip_cuid_db1fe71d524fe51
__hip_cuid_db1fe71d524fe51:
	.byte	0                               ; 0x0
	.size	__hip_cuid_db1fe71d524fe51, 1

	.ident	"AMD clang version 19.0.0git (https://github.com/RadeonOpenCompute/llvm-project roc-6.4.0 25133 c7fe45cf4b819c5991fe208aaa96edf142730f1d)"
	.section	".note.GNU-stack","",@progbits
	.addrsig
	.addrsig_sym __hip_cuid_db1fe71d524fe51
	.amdgpu_metadata
---
amdhsa.kernels:
  - .args:
      - .actual_access:  read_only
        .address_space:  global
        .offset:         0
        .size:           8
        .value_kind:     global_buffer
      - .offset:         8
        .size:           8
        .value_kind:     by_value
      - .actual_access:  read_only
        .address_space:  global
        .offset:         16
        .size:           8
        .value_kind:     global_buffer
      - .actual_access:  read_only
        .address_space:  global
        .offset:         24
        .size:           8
        .value_kind:     global_buffer
      - .offset:         32
        .size:           8
        .value_kind:     by_value
      - .actual_access:  read_only
        .address_space:  global
        .offset:         40
        .size:           8
        .value_kind:     global_buffer
      - .actual_access:  read_only
        .address_space:  global
        .offset:         48
        .size:           8
        .value_kind:     global_buffer
      - .offset:         56
        .size:           4
        .value_kind:     by_value
      - .actual_access:  read_only
        .address_space:  global
        .offset:         64
        .size:           8
        .value_kind:     global_buffer
      - .actual_access:  read_only
        .address_space:  global
        .offset:         72
        .size:           8
        .value_kind:     global_buffer
      - .address_space:  global
        .offset:         80
        .size:           8
        .value_kind:     global_buffer
    .group_segment_fixed_size: 0
    .kernarg_segment_align: 8
    .kernarg_segment_size: 88
    .language:       OpenCL C
    .language_version:
      - 2
      - 0
    .max_flat_workgroup_size: 125
    .name:           fft_rtc_fwd_len3750_factors_3_5_5_10_5_wgs_125_tpt_125_halfLds_sp_ip_CI_sbrr_dirReg
    .private_segment_fixed_size: 0
    .sgpr_count:     37
    .sgpr_spill_count: 0
    .symbol:         fft_rtc_fwd_len3750_factors_3_5_5_10_5_wgs_125_tpt_125_halfLds_sp_ip_CI_sbrr_dirReg.kd
    .uniform_work_group_size: 1
    .uses_dynamic_stack: false
    .vgpr_count:     192
    .vgpr_spill_count: 0
    .wavefront_size: 32
    .workgroup_processor_mode: 1
amdhsa.target:   amdgcn-amd-amdhsa--gfx1201
amdhsa.version:
  - 1
  - 2
...

	.end_amdgpu_metadata
